;; amdgpu-corpus repo=ROCm/rocFFT kind=compiled arch=gfx1100 opt=O3
	.text
	.amdgcn_target "amdgcn-amd-amdhsa--gfx1100"
	.amdhsa_code_object_version 6
	.protected	bluestein_single_back_len4096_dim1_sp_op_CI_CI ; -- Begin function bluestein_single_back_len4096_dim1_sp_op_CI_CI
	.globl	bluestein_single_back_len4096_dim1_sp_op_CI_CI
	.p2align	8
	.type	bluestein_single_back_len4096_dim1_sp_op_CI_CI,@function
bluestein_single_back_len4096_dim1_sp_op_CI_CI: ; @bluestein_single_back_len4096_dim1_sp_op_CI_CI
; %bb.0:
	s_mov_b32 s2, s15
	s_load_b128 s[12:15], s[0:1], 0x28
	s_mov_b32 s3, 0
	s_mov_b32 s5, exec_lo
	s_waitcnt lgkmcnt(0)
	v_cmpx_lt_u64_e64 s[2:3], s[12:13]
	s_cbranch_execz .LBB0_2
; %bb.1:
	s_clause 0x1
	s_load_b128 s[4:7], s[0:1], 0x18
	s_load_b128 s[8:11], s[0:1], 0x0
	v_dual_mov_b32 v90, s3 :: v_dual_lshlrev_b32 v137, 3, v0
	v_mov_b32_e32 v89, s2
	s_load_b64 s[0:1], s[0:1], 0x38
	v_lshlrev_b32_e32 v138, 7, v0
	s_delay_alu instid0(VALU_DEP_3)
	v_or_b32_e32 v94, 0x1000, v137
	v_or_b32_e32 v95, 0x1800, v137
	;; [unrolled: 1-line block ×13, first 2 shown]
	s_waitcnt lgkmcnt(0)
	s_load_b128 s[16:19], s[4:5], 0x0
	s_clause 0x2
	global_load_b64 v[57:58], v137, s[8:9]
	global_load_b64 v[59:60], v137, s[8:9] offset:2048
	global_load_b64 v[63:64], v94, s[8:9]
	s_add_u32 s2, s8, 0x8000
	s_addc_u32 s3, s9, 0
	s_clause 0xa
	global_load_b64 v[75:76], v95, s[8:9]
	global_load_b64 v[77:78], v96, s[8:9]
	;; [unrolled: 1-line block ×11, first 2 shown]
	v_or_b32_e32 v134, 0x7800, v137
	v_mad_u64_u32 v[92:93], null, 0x78, v0, s[10:11]
	s_waitcnt lgkmcnt(0)
	v_mad_u64_u32 v[1:2], null, s18, v89, 0
	v_mad_u64_u32 v[3:4], null, s16, v0, 0
	s_lshl_b64 s[4:5], s[16:17], 11
	s_delay_alu instid0(VALU_DEP_1) | instskip(NEXT) | instid1(VALU_DEP_1)
	v_mad_u64_u32 v[5:6], null, s19, v89, v[2:3]
	v_mov_b32_e32 v2, v5
	s_delay_alu instid0(VALU_DEP_3) | instskip(NEXT) | instid1(VALU_DEP_2)
	v_mad_u64_u32 v[6:7], null, s17, v0, v[4:5]
	v_lshlrev_b64 v[1:2], 3, v[1:2]
	s_delay_alu instid0(VALU_DEP_2) | instskip(NEXT) | instid1(VALU_DEP_2)
	v_mov_b32_e32 v4, v6
	v_add_co_u32 v1, vcc_lo, s14, v1
	s_delay_alu instid0(VALU_DEP_3) | instskip(NEXT) | instid1(VALU_DEP_3)
	v_add_co_ci_u32_e32 v2, vcc_lo, s15, v2, vcc_lo
	v_lshlrev_b64 v[3:4], 3, v[3:4]
	s_delay_alu instid0(VALU_DEP_1) | instskip(NEXT) | instid1(VALU_DEP_2)
	v_add_co_u32 v1, vcc_lo, v1, v3
	v_add_co_ci_u32_e32 v2, vcc_lo, v2, v4, vcc_lo
	s_delay_alu instid0(VALU_DEP_2) | instskip(NEXT) | instid1(VALU_DEP_2)
	v_add_co_u32 v3, vcc_lo, v1, s4
	v_add_co_ci_u32_e32 v4, vcc_lo, s5, v2, vcc_lo
	global_load_b64 v[1:2], v[1:2], off
	v_add_co_u32 v5, vcc_lo, v3, s4
	v_add_co_ci_u32_e32 v6, vcc_lo, s5, v4, vcc_lo
	global_load_b64 v[3:4], v[3:4], off
	;; [unrolled: 3-line block ×14, first 2 shown]
	v_add_co_u32 v31, vcc_lo, v29, s4
	v_add_co_ci_u32_e32 v32, vcc_lo, s5, v30, vcc_lo
	global_load_b64 v[85:86], v132, s[8:9]
	global_load_b64 v[29:30], v[29:30], off
	global_load_b64 v[87:88], v134, s[8:9]
	global_load_b64 v[31:32], v[31:32], off
	s_load_b128 s[4:7], s[6:7], 0x0
	s_waitcnt vmcnt(17)
	v_mul_f32_e32 v33, v2, v58
	v_mul_f32_e32 v34, v1, v58
	s_delay_alu instid0(VALU_DEP_1) | instskip(SKIP_1) | instid1(VALU_DEP_3)
	v_fma_f32 v34, v2, v57, -v34
	s_waitcnt vmcnt(16)
	v_dual_mul_f32 v2, v3, v60 :: v_dual_fmac_f32 v33, v1, v57
	v_mul_f32_e32 v1, v4, v60
	s_waitcnt vmcnt(15)
	v_mul_f32_e32 v35, v6, v64
	v_mul_f32_e32 v36, v5, v64
	v_fma_f32 v2, v4, v59, -v2
	v_fmac_f32_e32 v1, v3, v59
	s_waitcnt vmcnt(14)
	v_mul_f32_e32 v3, v8, v76
	v_fma_f32 v36, v6, v63, -v36
	v_mul_f32_e32 v4, v7, v76
	s_waitcnt vmcnt(13)
	v_mul_f32_e32 v6, v9, v78
	v_fmac_f32_e32 v35, v5, v63
	v_fmac_f32_e32 v3, v7, v75
	v_fma_f32 v4, v8, v75, -v4
	v_mul_f32_e32 v5, v10, v78
	s_waitcnt vmcnt(12)
	v_mul_f32_e32 v7, v12, v80
	v_mul_f32_e32 v37, v11, v80
	ds_store_2addr_stride64_b64 v137, v[33:34], v[1:2] offset1:4
	ds_store_2addr_stride64_b64 v137, v[35:36], v[3:4] offset0:8 offset1:12
	v_fma_f32 v6, v10, v77, -v6
	s_waitcnt vmcnt(11)
	v_dual_mul_f32 v2, v13, v66 :: v_dual_fmac_f32 v7, v11, v79
	s_waitcnt vmcnt(10)
	v_dual_mul_f32 v1, v14, v66 :: v_dual_mul_f32 v4, v15, v68
	v_fmac_f32_e32 v5, v9, v77
	s_delay_alu instid0(VALU_DEP_3) | instskip(SKIP_1) | instid1(VALU_DEP_4)
	v_fma_f32 v2, v14, v65, -v2
	v_mul_f32_e32 v3, v16, v68
	v_fma_f32 v4, v16, v67, -v4
	s_waitcnt vmcnt(7)
	v_mul_f32_e32 v10, v21, v72
	v_mul_f32_e32 v9, v22, v72
	s_waitcnt vmcnt(6)
	v_mul_f32_e32 v11, v24, v82
	s_delay_alu instid0(VALU_DEP_2)
	v_fmac_f32_e32 v9, v21, v71
	v_fma_f32 v10, v22, v71, -v10
	s_waitcnt vmcnt(5)
	v_mul_f32_e32 v14, v25, v74
	v_fma_f32 v8, v12, v79, -v37
	v_mul_f32_e32 v12, v23, v82
	v_fmac_f32_e32 v11, v23, v81
	s_waitcnt vmcnt(4)
	v_mul_f32_e32 v16, v27, v84
	ds_store_2addr_stride64_b64 v137, v[5:6], v[7:8] offset0:16 offset1:20
	v_mul_f32_e32 v6, v17, v70
	v_mul_f32_e32 v5, v18, v70
	;; [unrolled: 1-line block ×3, first 2 shown]
	v_dual_mul_f32 v8, v19, v62 :: v_dual_fmac_f32 v1, v13, v65
	s_delay_alu instid0(VALU_DEP_4)
	v_fma_f32 v6, v18, v69, -v6
	v_mul_f32_e32 v13, v26, v74
	s_waitcnt vmcnt(2)
	v_dual_mul_f32 v18, v29, v86 :: v_dual_fmac_f32 v3, v15, v67
	v_mul_f32_e32 v15, v28, v84
	v_fmac_f32_e32 v5, v17, v69
	v_fmac_f32_e32 v7, v19, v61
	v_fma_f32 v8, v20, v61, -v8
	v_mul_f32_e32 v17, v30, v86
	s_waitcnt vmcnt(0)
	v_mul_f32_e32 v19, v32, v88
	v_mul_f32_e32 v20, v31, v88
	v_fma_f32 v12, v24, v81, -v12
	v_fmac_f32_e32 v13, v25, v73
	v_fma_f32 v14, v26, v73, -v14
	v_fmac_f32_e32 v15, v27, v83
	;; [unrolled: 2-line block ×4, first 2 shown]
	v_fma_f32 v20, v32, v87, -v20
	ds_store_2addr_stride64_b64 v137, v[1:2], v[3:4] offset0:24 offset1:28
	ds_store_2addr_stride64_b64 v137, v[5:6], v[7:8] offset0:32 offset1:36
	;; [unrolled: 1-line block ×5, first 2 shown]
	s_waitcnt lgkmcnt(0)
	s_barrier
	buffer_gl0_inv
	ds_load_2addr_stride64_b64 v[1:4], v137 offset1:4
	ds_load_2addr_stride64_b64 v[5:8], v137 offset0:32 offset1:36
	ds_load_2addr_stride64_b64 v[9:12], v137 offset0:16 offset1:20
	;; [unrolled: 1-line block ×7, first 2 shown]
	s_waitcnt lgkmcnt(0)
	s_barrier
	buffer_gl0_inv
	v_sub_f32_e32 v6, v2, v6
	v_sub_f32_e32 v8, v4, v8
	;; [unrolled: 1-line block ×5, first 2 shown]
	v_fma_f32 v2, v2, 2.0, -v6
	v_sub_f32_e32 v30, v26, v30
	v_fma_f32 v10, v10, 2.0, -v14
	v_sub_f32_e32 v32, v28, v32
	;; [unrolled: 2-line block ×3, first 2 shown]
	v_fma_f32 v26, v26, 2.0, -v30
	v_dual_sub_f32 v10, v2, v10 :: v_dual_sub_f32 v31, v27, v31
	v_fma_f32 v28, v28, 2.0, -v32
	v_fma_f32 v4, v4, 2.0, -v8
	s_delay_alu instid0(VALU_DEP_4) | instskip(NEXT) | instid1(VALU_DEP_4)
	v_sub_f32_e32 v26, v18, v26
	v_fma_f32 v40, v2, 2.0, -v10
	v_fma_f32 v27, v27, 2.0, -v31
	v_add_f32_e32 v31, v24, v31
	v_fma_f32 v20, v20, 2.0, -v24
	v_fma_f32 v2, v18, 2.0, -v26
	v_sub_f32_e32 v23, v19, v23
	v_fma_f32 v12, v12, 2.0, -v16
	v_fma_f32 v24, v24, 2.0, -v31
	v_sub_f32_e32 v28, v20, v28
	s_delay_alu instid0(VALU_DEP_4) | instskip(SKIP_3) | instid1(VALU_DEP_4)
	v_sub_f32_e32 v32, v23, v32
	v_sub_f32_e32 v15, v11, v15
	v_fma_f32 v19, v19, 2.0, -v23
	v_sub_f32_e32 v12, v4, v12
	v_fma_f32 v23, v23, 2.0, -v32
	s_delay_alu instid0(VALU_DEP_4) | instskip(SKIP_4) | instid1(VALU_DEP_4)
	v_fma_f32 v11, v11, 2.0, -v15
	v_add_f32_e32 v15, v8, v15
	v_sub_f32_e32 v5, v1, v5
	v_fma_f32 v18, v4, 2.0, -v12
	v_fma_f32 v4, v20, 2.0, -v28
	v_fmamk_f32 v38, v31, 0x3f3504f3, v15
	v_fma_f32 v8, v8, 2.0, -v15
	v_sub_f32_e32 v29, v25, v29
	v_fma_f32 v1, v1, 2.0, -v5
	v_sub_f32_e32 v14, v5, v14
	v_fmac_f32_e32 v38, 0x3f3504f3, v32
	s_delay_alu instid0(VALU_DEP_4) | instskip(SKIP_1) | instid1(VALU_DEP_4)
	v_fma_f32 v25, v25, 2.0, -v29
	v_add_f32_e32 v29, v22, v29
	v_fma_f32 v5, v5, 2.0, -v14
	s_delay_alu instid0(VALU_DEP_2) | instskip(SKIP_1) | instid1(VALU_DEP_1)
	v_fma_f32 v22, v22, 2.0, -v29
	v_sub_f32_e32 v13, v9, v13
	v_fma_f32 v9, v9, 2.0, -v13
	s_delay_alu instid0(VALU_DEP_1) | instskip(NEXT) | instid1(VALU_DEP_1)
	v_sub_f32_e32 v9, v1, v9
	v_dual_sub_f32 v7, v3, v7 :: v_dual_sub_f32 v26, v9, v26
	s_delay_alu instid0(VALU_DEP_1) | instskip(SKIP_1) | instid1(VALU_DEP_2)
	v_fma_f32 v3, v3, 2.0, -v7
	v_sub_f32_e32 v16, v7, v16
	v_sub_f32_e32 v11, v3, v11
	v_add_f32_e32 v13, v6, v13
	s_delay_alu instid0(VALU_DEP_3) | instskip(SKIP_1) | instid1(VALU_DEP_4)
	v_fmamk_f32 v37, v32, 0x3f3504f3, v16
	v_dual_sub_f32 v32, v40, v2 :: v_dual_sub_f32 v27, v19, v27
	v_sub_f32_e32 v28, v11, v28
	s_delay_alu instid0(VALU_DEP_4) | instskip(SKIP_1) | instid1(VALU_DEP_4)
	v_dual_fmamk_f32 v36, v29, 0x3f3504f3, v13 :: v_dual_and_b32 v35, 15, v0
	v_sub_f32_e32 v21, v17, v21
	v_fma_f32 v40, v40, 2.0, -v32
	v_fma_f32 v6, v6, 2.0, -v13
	s_delay_alu instid0(VALU_DEP_4) | instskip(NEXT) | instid1(VALU_DEP_4)
	v_mad_u64_u32 v[33:34], null, 0x78, v35, s[10:11]
	v_sub_f32_e32 v30, v21, v30
	v_fma_f32 v7, v7, 2.0, -v16
	s_delay_alu instid0(VALU_DEP_4) | instskip(NEXT) | instid1(VALU_DEP_3)
	v_fmamk_f32 v20, v22, 0xbf3504f3, v6
	v_fmac_f32_e32 v36, 0x3f3504f3, v30
	v_fma_f32 v17, v17, 2.0, -v21
	v_fma_f32 v21, v21, 2.0, -v30
	v_fmamk_f32 v35, v30, 0x3f3504f3, v14
	v_fmamk_f32 v30, v24, 0xbf3504f3, v8
	v_fma_f32 v44, v13, 2.0, -v36
	v_sub_f32_e32 v25, v17, v25
	v_fmac_f32_e32 v20, 0x3f3504f3, v21
	s_delay_alu instid0(VALU_DEP_4) | instskip(SKIP_1) | instid1(VALU_DEP_4)
	v_fmac_f32_e32 v30, 0x3f3504f3, v23
	v_fma_f32 v39, v1, 2.0, -v9
	v_fma_f32 v1, v17, 2.0, -v25
	;; [unrolled: 1-line block ×4, first 2 shown]
	v_add_f32_e32 v25, v10, v25
	v_fmamk_f32 v19, v21, 0xbf3504f3, v5
	v_fma_f32 v41, v9, 2.0, -v26
	v_sub_f32_e32 v9, v18, v4
	v_fmamk_f32 v4, v38, 0x3f6c835e, v36
	v_fma_f32 v42, v10, 2.0, -v25
	v_dual_sub_f32 v10, v17, v3 :: v_dual_fmac_f32 v35, 0xbf3504f3, v29
	v_fmamk_f32 v29, v23, 0xbf3504f3, v7
	v_fmac_f32_e32 v37, 0xbf3504f3, v31
	v_fmac_f32_e32 v19, 0xbf3504f3, v22
	s_delay_alu instid0(VALU_DEP_4)
	v_fma_f32 v13, v17, 2.0, -v10
	v_add_f32_e32 v10, v32, v10
	v_add_f32_e32 v27, v12, v27
	v_fmac_f32_e32 v29, 0xbf3504f3, v24
	v_fma_f32 v43, v14, 2.0, -v35
	v_fma_f32 v23, v16, 2.0, -v37
	;; [unrolled: 1-line block ×4, first 2 shown]
	v_fmamk_f32 v12, v30, 0x3ec3ef15, v20
	v_fmamk_f32 v2, v27, 0x3f3504f3, v25
	v_fma_f32 v24, v15, 2.0, -v38
	v_fma_f32 v45, v5, 2.0, -v19
	;; [unrolled: 1-line block ×3, first 2 shown]
	v_sub_f32_e32 v31, v39, v1
	v_fma_f32 v47, v7, 2.0, -v29
	v_fmamk_f32 v8, v24, 0xbec3ef15, v44
	v_fma_f32 v21, v11, 2.0, -v28
	v_fmamk_f32 v16, v48, 0xbf6c835e, v46
	v_fmamk_f32 v1, v28, 0x3f3504f3, v26
	s_delay_alu instid0(VALU_DEP_4)
	v_dual_fmamk_f32 v3, v37, 0x3f6c835e, v35 :: v_dual_fmac_f32 v8, 0x3f6c835e, v23
	v_fmamk_f32 v11, v29, 0x3ec3ef15, v19
	v_dual_fmamk_f32 v5, v21, 0xbf3504f3, v41 :: v_dual_fmamk_f32 v6, v22, 0xbf3504f3, v42
	v_fmamk_f32 v7, v23, 0xbec3ef15, v43
	v_fma_f32 v39, v39, 2.0, -v31
	v_fmac_f32_e32 v4, 0x3ec3ef15, v37
	v_fma_f32 v14, v18, 2.0, -v9
	v_fmamk_f32 v15, v47, 0xbf6c835e, v45
	v_dual_sub_f32 v9, v31, v9 :: v_dual_fmac_f32 v16, 0x3ec3ef15, v47
	v_fmac_f32_e32 v1, 0xbf3504f3, v27
	v_fmac_f32_e32 v2, 0x3f3504f3, v28
	;; [unrolled: 1-line block ×8, first 2 shown]
	v_dual_sub_f32 v13, v39, v13 :: v_dual_sub_f32 v14, v40, v14
	v_fmac_f32_e32 v15, 0xbec3ef15, v48
	v_fma_f32 v17, v31, 2.0, -v9
	v_fma_f32 v18, v32, 2.0, -v10
	;; [unrolled: 1-line block ×12, first 2 shown]
	ds_store_b128 v138, v[1:4] offset:112
	v_fma_f32 v1, v39, 2.0, -v13
	v_fma_f32 v2, v40, 2.0, -v14
	;; [unrolled: 1-line block ×4, first 2 shown]
	ds_store_b128 v138, v[9:12] offset:96
	ds_store_b128 v138, v[21:24] offset:48
	;; [unrolled: 1-line block ×6, first 2 shown]
	ds_store_b128 v138, v[1:4]
	s_waitcnt lgkmcnt(0)
	s_barrier
	buffer_gl0_inv
	s_clause 0x7
	global_load_b128 v[13:16], v[33:34], off
	global_load_b128 v[9:12], v[33:34], off offset:16
	global_load_b128 v[5:8], v[33:34], off offset:32
	;; [unrolled: 1-line block ×6, first 2 shown]
	global_load_b64 v[90:91], v[33:34], off offset:112
	ds_load_2addr_stride64_b64 v[29:32], v137 offset1:4
	ds_load_2addr_stride64_b64 v[33:36], v137 offset0:8 offset1:12
	v_lshl_or_b32 v37, v0, 4, v0
	s_delay_alu instid0(VALU_DEP_1)
	v_and_b32_e32 v41, 0xf0f, v37
	ds_load_2addr_stride64_b64 v[37:40], v137 offset0:16 offset1:20
	s_waitcnt vmcnt(7) lgkmcnt(1)
	v_dual_mul_f32 v109, v31, v14 :: v_dual_mul_f32 v110, v34, v16
	v_dual_mul_f32 v108, v32, v14 :: v_dual_mul_f32 v111, v33, v16
	s_waitcnt vmcnt(6)
	v_mul_f32_e32 v112, v36, v10
	s_delay_alu instid0(VALU_DEP_3)
	v_fmac_f32_e32 v109, v32, v13
	v_fma_f32 v32, v33, v15, -v110
	v_lshlrev_b32_e32 v139, 3, v41
	ds_load_2addr_stride64_b64 v[41:44], v137 offset0:24 offset1:28
	ds_load_2addr_stride64_b64 v[45:48], v137 offset0:32 offset1:36
	;; [unrolled: 1-line block ×5, first 2 shown]
	v_fmac_f32_e32 v111, v34, v15
	s_waitcnt lgkmcnt(5)
	v_mul_f32_e32 v114, v38, v12
	s_waitcnt vmcnt(5)
	v_mul_f32_e32 v116, v40, v6
	v_fma_f32 v33, v35, v9, -v112
	v_fma_f32 v31, v31, v13, -v108
	s_waitcnt vmcnt(0) lgkmcnt(0)
	v_fma_f32 v34, v37, v11, -v114
	s_barrier
	buffer_gl0_inv
	v_mul_f32_e32 v124, v48, v26
	v_dual_mul_f32 v131, v51, v22 :: v_dual_mul_f32 v118, v42, v8
	v_dual_mul_f32 v141, v105, v20 :: v_dual_mul_f32 v120, v44, v2
	v_mul_f32_e32 v127, v49, v28
	s_delay_alu instid0(VALU_DEP_3)
	v_fmac_f32_e32 v131, v52, v21
	v_mul_f32_e32 v121, v43, v2
	v_mul_f32_e32 v136, v56, v18
	;; [unrolled: 1-line block ×3, first 2 shown]
	v_fmac_f32_e32 v127, v50, v27
	v_mul_f32_e32 v115, v37, v12
	v_fmac_f32_e32 v121, v44, v1
	v_fma_f32 v44, v104, v19, -v141
	v_mul_f32_e32 v113, v35, v10
	v_mul_f32_e32 v140, v55, v18
	v_fma_f32 v37, v43, v1, -v120
	v_fma_f32 v43, v55, v17, -v136
	;; [unrolled: 1-line block ×3, first 2 shown]
	v_fmac_f32_e32 v113, v36, v9
	v_fma_f32 v36, v41, v7, -v118
	v_mul_f32_e32 v126, v50, v28
	v_mul_f32_e32 v142, v104, v20
	;; [unrolled: 1-line block ×3, first 2 shown]
	v_fmac_f32_e32 v140, v56, v17
	v_dual_sub_f32 v44, v36, v44 :: v_dual_mul_f32 v125, v47, v26
	s_delay_alu instid0(VALU_DEP_4) | instskip(NEXT) | instid1(VALU_DEP_4)
	v_fmac_f32_e32 v142, v105, v19
	v_fmac_f32_e32 v144, v107, v90
	v_sub_f32_e32 v43, v35, v43
	s_delay_alu instid0(VALU_DEP_4) | instskip(SKIP_3) | instid1(VALU_DEP_3)
	v_fma_f32 v36, v36, 2.0, -v44
	v_dual_fmac_f32 v125, v48, v25 :: v_dual_sub_f32 v48, v111, v127
	v_fmac_f32_e32 v115, v38, v11
	v_fma_f32 v38, v45, v3, -v122
	v_dual_mul_f32 v117, v39, v6 :: v_dual_sub_f32 v50, v109, v125
	s_delay_alu instid0(VALU_DEP_4)
	v_add_f32_e32 v44, v48, v44
	v_fma_f32 v55, v111, 2.0, -v48
	v_fma_f32 v39, v47, v25, -v124
	v_sub_f32_e32 v38, v29, v38
	v_fma_f32 v35, v35, 2.0, -v43
	v_fma_f32 v48, v48, 2.0, -v44
	v_mul_f32_e32 v135, v53, v24
	v_fmac_f32_e32 v117, v40, v5
	v_fma_f32 v29, v29, 2.0, -v38
	v_mul_f32_e32 v133, v54, v24
	v_fma_f32 v40, v49, v27, -v126
	v_fmac_f32_e32 v135, v54, v23
	v_sub_f32_e32 v39, v31, v39
	s_delay_alu instid0(VALU_DEP_3) | instskip(NEXT) | instid1(VALU_DEP_3)
	v_dual_add_f32 v43, v50, v43 :: v_dual_sub_f32 v40, v32, v40
	v_sub_f32_e32 v47, v115, v135
	s_delay_alu instid0(VALU_DEP_3) | instskip(NEXT) | instid1(VALU_DEP_3)
	v_fma_f32 v31, v31, 2.0, -v39
	v_fma_f32 v32, v32, 2.0, -v40
	s_delay_alu instid0(VALU_DEP_3) | instskip(SKIP_2) | instid1(VALU_DEP_4)
	v_fma_f32 v54, v115, 2.0, -v47
	v_mul_f32_e32 v123, v45, v4
	v_sub_f32_e32 v47, v38, v47
	v_dual_sub_f32 v35, v31, v35 :: v_dual_sub_f32 v36, v32, v36
	s_delay_alu instid0(VALU_DEP_3) | instskip(NEXT) | instid1(VALU_DEP_3)
	v_fmac_f32_e32 v123, v46, v3
	v_fma_f32 v38, v38, 2.0, -v47
	s_delay_alu instid0(VALU_DEP_2) | instskip(NEXT) | instid1(VALU_DEP_1)
	v_dual_sub_f32 v46, v30, v123 :: v_dual_mul_f32 v119, v41, v8
	v_fma_f32 v30, v30, 2.0, -v46
	s_delay_alu instid0(VALU_DEP_2) | instskip(SKIP_1) | instid1(VALU_DEP_3)
	v_fmac_f32_e32 v119, v42, v7
	v_fma_f32 v42, v53, v23, -v133
	v_dual_sub_f32 v53, v121, v144 :: v_dual_sub_f32 v54, v30, v54
	s_delay_alu instid0(VALU_DEP_3) | instskip(NEXT) | instid1(VALU_DEP_3)
	v_sub_f32_e32 v49, v119, v142
	v_sub_f32_e32 v42, v34, v42
	s_delay_alu instid0(VALU_DEP_3) | instskip(NEXT) | instid1(VALU_DEP_3)
	v_add_f32_e32 v115, v54, v36
	v_fma_f32 v56, v119, 2.0, -v49
	v_dual_mul_f32 v129, v52, v22 :: v_dual_sub_f32 v52, v113, v131
	s_delay_alu instid0(VALU_DEP_4) | instskip(SKIP_1) | instid1(VALU_DEP_4)
	v_fma_f32 v34, v34, 2.0, -v42
	v_add_f32_e32 v42, v46, v42
	v_dual_sub_f32 v56, v55, v56 :: v_dual_sub_f32 v49, v40, v49
	v_mul_f32_e32 v143, v107, v91
	v_fma_f32 v107, v121, 2.0, -v53
	s_delay_alu instid0(VALU_DEP_4)
	v_fma_f32 v46, v46, 2.0, -v42
	v_sub_f32_e32 v34, v29, v34
	v_fmamk_f32 v108, v49, 0x3f3504f3, v47
	v_fma_f32 v45, v106, v90, -v143
	v_fma_f32 v106, v113, 2.0, -v52
	v_fma_f32 v40, v40, 2.0, -v49
	v_fmamk_f32 v114, v48, 0xbf3504f3, v46
	v_fma_f32 v41, v51, v21, -v129
	v_fma_f32 v112, v29, 2.0, -v34
	v_sub_f32_e32 v107, v106, v107
	v_fma_f32 v113, v30, 2.0, -v54
	v_fma_f32 v29, v32, 2.0, -v36
	;; [unrolled: 1-line block ×3, first 2 shown]
	v_sub_f32_e32 v56, v34, v56
	v_fma_f32 v104, v109, 2.0, -v50
	v_fmamk_f32 v109, v44, 0x3f3504f3, v42
	v_fma_f32 v32, v106, 2.0, -v107
	v_fmamk_f32 v106, v40, 0xbf3504f3, v38
	v_fmac_f32_e32 v114, 0x3f3504f3, v40
	v_fmac_f32_e32 v108, 0xbf3504f3, v44
	v_fmac_f32_e32 v109, 0x3f3504f3, v49
	s_delay_alu instid0(VALU_DEP_4) | instskip(SKIP_3) | instid1(VALU_DEP_4)
	v_dual_sub_f32 v41, v33, v41 :: v_dual_fmac_f32 v106, 0xbf3504f3, v48
	v_sub_f32_e32 v51, v117, v140
	v_fma_f32 v120, v46, 2.0, -v114
	v_sub_f32_e32 v45, v37, v45
	v_fma_f32 v33, v33, 2.0, -v41
	;; [unrolled: 2-line block ×3, first 2 shown]
	v_fma_f32 v54, v54, 2.0, -v115
	v_fma_f32 v37, v37, 2.0, -v45
	v_add_f32_e32 v45, v52, v45
	v_fma_f32 v117, v34, 2.0, -v56
	v_sub_f32_e32 v105, v104, v105
	v_fma_f32 v118, v47, 2.0, -v108
	v_sub_f32_e32 v37, v33, v37
	;; [unrolled: 2-line block ×3, first 2 shown]
	v_fmamk_f32 v111, v45, 0x3f3504f3, v43
	v_fma_f32 v104, v104, 2.0, -v105
	v_add_f32_e32 v107, v105, v37
	v_fma_f32 v55, v31, 2.0, -v35
	v_fma_f32 v31, v33, 2.0, -v37
	;; [unrolled: 1-line block ×3, first 2 shown]
	v_sub_f32_e32 v37, v104, v32
	v_fma_f32 v48, v105, 2.0, -v107
	v_fma_f32 v52, v52, 2.0, -v45
	v_sub_f32_e32 v40, v55, v31
	v_fma_f32 v119, v42, 2.0, -v109
	v_fma_f32 v42, v104, 2.0, -v37
	v_fmamk_f32 v34, v48, 0xbf3504f3, v54
	v_dual_fmamk_f32 v116, v52, 0xbf3504f3, v50 :: v_dual_fmamk_f32 v33, v47, 0xbf3504f3, v117
	s_delay_alu instid0(VALU_DEP_2) | instskip(NEXT) | instid1(VALU_DEP_2)
	v_dual_fmac_f32 v34, 0x3f3504f3, v47 :: v_dual_sub_f32 v53, v41, v53
	v_fmac_f32_e32 v33, 0xbf3504f3, v48
	s_delay_alu instid0(VALU_DEP_2) | instskip(SKIP_1) | instid1(VALU_DEP_2)
	v_fmamk_f32 v110, v53, 0x3f3504f3, v51
	v_fmac_f32_e32 v111, 0x3f3504f3, v53
	v_fmac_f32_e32 v110, 0xbf3504f3, v45
	s_delay_alu instid0(VALU_DEP_2)
	v_fmamk_f32 v32, v111, 0x3f6c835e, v109
	v_fma_f32 v41, v41, 2.0, -v53
	v_sub_f32_e32 v45, v112, v29
	v_sub_f32_e32 v53, v113, v30
	v_fmamk_f32 v29, v44, 0x3f3504f3, v56
	v_fmac_f32_e32 v32, 0x3ec3ef15, v110
	v_fma_f32 v39, v39, 2.0, -v51
	v_fmac_f32_e32 v116, 0x3f3504f3, v41
	v_fma_f32 v51, v51, 2.0, -v110
	v_fmamk_f32 v30, v107, 0x3f3504f3, v115
	v_fmamk_f32 v31, v110, 0x3f6c835e, v108
	;; [unrolled: 1-line block ×3, first 2 shown]
	v_fma_f32 v105, v112, 2.0, -v45
	v_fma_f32 v112, v113, 2.0, -v53
	;; [unrolled: 1-line block ×4, first 2 shown]
	v_fmac_f32_e32 v49, 0xbf3504f3, v52
	v_fma_f32 v52, v43, 2.0, -v111
	v_fma_f32 v104, v50, 2.0, -v116
	v_dual_fmamk_f32 v35, v51, 0xbec3ef15, v118 :: v_dual_add_f32 v38, v53, v40
	s_delay_alu instid0(VALU_DEP_4) | instskip(NEXT) | instid1(VALU_DEP_4)
	v_fma_f32 v55, v39, 2.0, -v49
	v_fmamk_f32 v36, v52, 0xbec3ef15, v119
	v_fmamk_f32 v39, v49, 0x3ec3ef15, v106
	;; [unrolled: 1-line block ×3, first 2 shown]
	v_fmac_f32_e32 v29, 0xbf3504f3, v107
	v_fmac_f32_e32 v30, 0x3f3504f3, v44
	;; [unrolled: 1-line block ×3, first 2 shown]
	v_dual_fmamk_f32 v43, v55, 0xbf6c835e, v113 :: v_dual_fmamk_f32 v44, v104, 0xbf6c835e, v120
	v_fmac_f32_e32 v35, 0xbf6c835e, v52
	v_dual_fmac_f32 v36, 0x3f6c835e, v51 :: v_dual_sub_f32 v37, v45, v37
	v_fmac_f32_e32 v39, 0xbf6c835e, v116
	v_fmac_f32_e32 v40, 0x3f6c835e, v49
	v_dual_sub_f32 v41, v105, v41 :: v_dual_sub_f32 v42, v112, v42
	v_fma_f32 v47, v56, 2.0, -v29
	v_fma_f32 v48, v115, 2.0, -v30
	;; [unrolled: 1-line block ×4, first 2 shown]
	v_fmac_f32_e32 v43, 0xbec3ef15, v104
	v_fmac_f32_e32 v44, 0x3ec3ef15, v55
	ds_store_2addr_b64 v139, v[29:30], v[31:32] offset0:224 offset1:240
	v_fma_f32 v31, v117, 2.0, -v33
	v_fma_f32 v32, v54, 2.0, -v34
	;; [unrolled: 1-line block ×10, first 2 shown]
	ds_store_2addr_b64 v139, v[47:48], v[49:50] offset0:96 offset1:112
	ds_store_2addr_b64 v139, v[33:34], v[35:36] offset0:160 offset1:176
	v_fma_f32 v33, v113, 2.0, -v43
	v_fma_f32 v34, v120, 2.0, -v44
	ds_store_2addr_b64 v139, v[37:38], v[39:40] offset0:192 offset1:208
	ds_store_2addr_b64 v139, v[31:32], v[51:52] offset0:32 offset1:48
	;; [unrolled: 1-line block ×4, first 2 shown]
	ds_store_2addr_b64 v139, v[29:30], v[33:34] offset1:16
	s_waitcnt lgkmcnt(0)
	s_barrier
	buffer_gl0_inv
	s_clause 0x7
	global_load_b128 v[41:44], v[92:93], off offset:1920
	global_load_b128 v[37:40], v[92:93], off offset:1936
	;; [unrolled: 1-line block ×7, first 2 shown]
	global_load_b64 v[92:93], v[92:93], off offset:2032
	ds_load_2addr_stride64_b64 v[104:107], v137 offset1:4
	ds_load_2addr_stride64_b64 v[108:111], v137 offset0:8 offset1:12
	ds_load_2addr_stride64_b64 v[112:115], v137 offset0:16 offset1:20
	;; [unrolled: 1-line block ×7, first 2 shown]
	s_waitcnt vmcnt(6) lgkmcnt(6)
	v_mul_f32_e32 v148, v110, v38
	s_waitcnt lgkmcnt(5)
	v_mul_f32_e32 v150, v112, v40
	s_waitcnt vmcnt(4) lgkmcnt(3)
	v_mul_f32_e32 v157, v121, v32
	s_waitcnt vmcnt(2) lgkmcnt(2)
	v_dual_mul_f32 v149, v113, v40 :: v_dual_mul_f32 v164, v126, v50
	v_mul_f32_e32 v152, v114, v34
	s_waitcnt vmcnt(1) lgkmcnt(1)
	v_mul_f32_e32 v168, v142, v46
	v_fmac_f32_e32 v148, v111, v37
	v_fmac_f32_e32 v150, v113, v39
	v_fma_f32 v113, v120, v31, -v157
	v_dual_fmac_f32 v164, v127, v49 :: v_dual_mul_f32 v153, v117, v36
	v_mul_f32_e32 v155, v119, v30
	v_mul_f32_e32 v163, v127, v50
	s_waitcnt vmcnt(0) lgkmcnt(0)
	v_mul_f32_e32 v171, v147, v93
	v_fmac_f32_e32 v152, v115, v33
	v_dual_fmac_f32 v168, v143, v45 :: v_dual_sub_f32 v127, v148, v164
	v_sub_f32_e32 v113, v104, v113
	v_dual_mul_f32 v135, v108, v44 :: v_dual_mul_f32 v136, v111, v38
	v_mul_f32_e32 v154, v116, v36
	v_mul_f32_e32 v158, v120, v32
	v_fma_f32 v111, v116, v35, -v153
	s_delay_alu instid0(VALU_DEP_4)
	v_fmac_f32_e32 v135, v109, v43
	v_fma_f32 v116, v126, v49, -v163
	v_fma_f32 v120, v146, v92, -v171
	v_sub_f32_e32 v126, v152, v168
	v_mul_f32_e32 v133, v109, v44
	v_fma_f32 v109, v112, v39, -v149
	v_fma_f32 v112, v118, v29, -v155
	v_mul_f32_e32 v131, v106, v42
	v_mul_f32_e32 v165, v141, v52
	;; [unrolled: 1-line block ×3, first 2 shown]
	v_fmac_f32_e32 v154, v117, v35
	v_dual_sub_f32 v120, v112, v120 :: v_dual_mul_f32 v129, v107, v42
	s_delay_alu instid0(VALU_DEP_4) | instskip(SKIP_2) | instid1(VALU_DEP_4)
	v_fma_f32 v117, v140, v51, -v165
	v_mul_f32_e32 v156, v118, v30
	v_mul_f32_e32 v162, v124, v56
	v_fma_f32 v112, v112, 2.0, -v120
	v_add_f32_e32 v120, v127, v120
	v_fmac_f32_e32 v166, v141, v51
	v_fma_f32 v140, v152, 2.0, -v126
	v_sub_f32_e32 v117, v109, v117
	v_fma_f32 v141, v148, 2.0, -v127
	v_fmac_f32_e32 v131, v107, v41
	v_fma_f32 v107, v108, v43, -v133
	v_fma_f32 v108, v110, v37, -v136
	v_fma_f32 v127, v127, 2.0, -v120
	v_dual_mul_f32 v169, v145, v48 :: v_dual_mul_f32 v160, v122, v54
	v_fmac_f32_e32 v156, v119, v29
	v_fmac_f32_e32 v158, v121, v31
	;; [unrolled: 1-line block ×3, first 2 shown]
	s_delay_alu instid0(VALU_DEP_4)
	v_fma_f32 v119, v144, v47, -v169
	v_sub_f32_e32 v116, v108, v116
	v_fma_f32 v104, v104, 2.0, -v113
	v_fma_f32 v109, v109, 2.0, -v117
	v_mul_f32_e32 v172, v146, v93
	v_dual_fmac_f32 v160, v123, v53 :: v_dual_sub_f32 v121, v105, v158
	v_sub_f32_e32 v119, v111, v119
	v_fma_f32 v108, v108, 2.0, -v116
	v_mul_f32_e32 v151, v115, v34
	v_sub_f32_e32 v109, v104, v109
	v_mul_f32_e32 v159, v123, v54
	v_sub_f32_e32 v123, v135, v162
	v_fma_f32 v106, v106, v41, -v129
	v_fmac_f32_e32 v172, v147, v92
	v_fma_f32 v111, v111, 2.0, -v119
	v_sub_f32_e32 v112, v108, v112
	v_fma_f32 v110, v114, v33, -v151
	v_fma_f32 v114, v122, v53, -v159
	v_add_f32_e32 v119, v123, v119
	v_fma_f32 v147, v104, 2.0, -v109
	v_dual_add_f32 v117, v121, v117 :: v_dual_mul_f32 v170, v144, v48
	s_delay_alu instid0(VALU_DEP_4) | instskip(SKIP_1) | instid1(VALU_DEP_3)
	v_dual_sub_f32 v114, v106, v114 :: v_dual_sub_f32 v129, v156, v172
	v_sub_f32_e32 v122, v150, v166
	v_fmamk_f32 v144, v119, 0x3f3504f3, v117
	v_mul_f32_e32 v167, v143, v46
	s_delay_alu instid0(VALU_DEP_4)
	v_sub_f32_e32 v126, v114, v126
	v_fmac_f32_e32 v170, v145, v47
	v_fma_f32 v106, v106, 2.0, -v114
	v_fma_f32 v133, v150, 2.0, -v122
	v_fma_f32 v118, v142, v45, -v167
	v_fma_f32 v142, v156, 2.0, -v129
	v_sub_f32_e32 v129, v116, v129
	v_mul_f32_e32 v161, v125, v56
	v_fma_f32 v114, v114, 2.0, -v126
	v_sub_f32_e32 v118, v110, v118
	v_sub_f32_e32 v142, v141, v142
	v_fmamk_f32 v145, v129, 0x3f3504f3, v126
	v_sub_f32_e32 v122, v113, v122
	s_delay_alu instid0(VALU_DEP_4) | instskip(NEXT) | instid1(VALU_DEP_3)
	v_fma_f32 v110, v110, 2.0, -v118
	v_fmac_f32_e32 v145, 0xbf3504f3, v120
	s_delay_alu instid0(VALU_DEP_3) | instskip(NEXT) | instid1(VALU_DEP_3)
	v_fma_f32 v113, v113, 2.0, -v122
	v_sub_f32_e32 v110, v106, v110
	s_delay_alu instid0(VALU_DEP_3) | instskip(SKIP_1) | instid1(VALU_DEP_1)
	v_fma_f32 v126, v126, 2.0, -v145
	v_sub_f32_e32 v125, v131, v160
	v_add_f32_e32 v118, v125, v118
	v_fma_f32 v131, v131, 2.0, -v125
	s_delay_alu instid0(VALU_DEP_2) | instskip(NEXT) | instid1(VALU_DEP_2)
	v_fmamk_f32 v146, v120, 0x3f3504f3, v118
	v_sub_f32_e32 v140, v131, v140
	s_delay_alu instid0(VALU_DEP_2) | instskip(SKIP_2) | instid1(VALU_DEP_4)
	v_fmac_f32_e32 v146, 0x3f3504f3, v129
	v_fma_f32 v115, v124, v55, -v161
	v_sub_f32_e32 v124, v154, v170
	v_fma_f32 v131, v131, 2.0, -v140
	s_delay_alu instid0(VALU_DEP_3) | instskip(NEXT) | instid1(VALU_DEP_3)
	v_sub_f32_e32 v115, v107, v115
	v_fma_f32 v136, v154, 2.0, -v124
	s_delay_alu instid0(VALU_DEP_2) | instskip(SKIP_3) | instid1(VALU_DEP_4)
	v_fma_f32 v107, v107, 2.0, -v115
	v_sub_f32_e32 v124, v115, v124
	v_fma_f32 v135, v135, 2.0, -v123
	v_fma_f32 v123, v123, 2.0, -v119
	v_sub_f32_e32 v111, v107, v111
	s_delay_alu instid0(VALU_DEP_3) | instskip(SKIP_2) | instid1(VALU_DEP_4)
	v_dual_fmamk_f32 v143, v124, 0x3f3504f3, v122 :: v_dual_sub_f32 v136, v135, v136
	v_fma_f32 v105, v105, 2.0, -v121
	v_fmac_f32_e32 v144, 0x3f3504f3, v124
	v_fma_f32 v104, v107, 2.0, -v111
	v_fma_f32 v107, v141, 2.0, -v142
	v_fmac_f32_e32 v143, 0xbf3504f3, v119
	v_dual_sub_f32 v119, v110, v142 :: v_dual_add_f32 v142, v140, v112
	v_fma_f32 v115, v115, 2.0, -v124
	v_sub_f32_e32 v120, v147, v104
	v_fma_f32 v121, v121, 2.0, -v117
	v_fma_f32 v153, v122, 2.0, -v143
	;; [unrolled: 1-line block ×3, first 2 shown]
	v_fmamk_f32 v141, v115, 0xbf3504f3, v113
	v_fma_f32 v154, v117, 2.0, -v144
	v_fmamk_f32 v149, v123, 0xbf3504f3, v121
	s_delay_alu instid0(VALU_DEP_3) | instskip(SKIP_1) | instid1(VALU_DEP_3)
	v_fmac_f32_e32 v141, 0xbf3504f3, v123
	v_sub_f32_e32 v133, v105, v133
	v_fmac_f32_e32 v149, 0x3f3504f3, v115
	v_fma_f32 v123, v140, 2.0, -v142
	v_fma_f32 v140, v147, 2.0, -v120
	s_delay_alu instid0(VALU_DEP_4)
	v_fma_f32 v148, v105, 2.0, -v133
	v_fma_f32 v105, v135, 2.0, -v136
	;; [unrolled: 1-line block ×4, first 2 shown]
	v_fmamk_f32 v110, v126, 0xbec3ef15, v153
	v_fma_f32 v125, v125, 2.0, -v118
	v_dual_sub_f32 v112, v131, v107 :: v_dual_fmamk_f32 v107, v146, 0x3f6c835e, v144
	s_delay_alu instid0(VALU_DEP_4) | instskip(NEXT) | instid1(VALU_DEP_3)
	v_dual_sub_f32 v115, v135, v106 :: v_dual_fmamk_f32 v106, v145, 0x3f6c835e, v143
	v_fmamk_f32 v151, v127, 0xbf3504f3, v125
	s_delay_alu instid0(VALU_DEP_3)
	v_fma_f32 v117, v131, 2.0, -v112
	v_fma_f32 v155, v121, 2.0, -v149
	v_fmac_f32_e32 v107, 0x3ec3ef15, v145
	v_fmac_f32_e32 v106, 0xbec3ef15, v146
	v_fma_f32 v116, v116, 2.0, -v129
	v_sub_f32_e32 v112, v120, v112
	s_delay_alu instid0(VALU_DEP_2) | instskip(SKIP_2) | instid1(VALU_DEP_4)
	v_fmamk_f32 v124, v116, 0xbf3504f3, v114
	v_fmac_f32_e32 v151, 0x3f3504f3, v116
	v_fma_f32 v116, v135, 2.0, -v115
	v_fma_f32 v120, v120, 2.0, -v112
	s_delay_alu instid0(VALU_DEP_4) | instskip(SKIP_1) | instid1(VALU_DEP_4)
	v_fmac_f32_e32 v124, 0xbf3504f3, v127
	v_fma_f32 v127, v118, 2.0, -v146
	v_sub_f32_e32 v116, v140, v116
	v_fma_f32 v135, v125, 2.0, -v151
	v_fma_f32 v125, v144, 2.0, -v107
	;; [unrolled: 1-line block ×3, first 2 shown]
	v_fmamk_f32 v114, v124, 0x3ec3ef15, v141
	v_dual_sub_f32 v129, v148, v105 :: v_dual_add_f32 v150, v133, v111
	v_fmac_f32_e32 v110, 0xbf6c835e, v127
	v_fmamk_f32 v111, v127, 0xbec3ef15, v154
	s_delay_alu instid0(VALU_DEP_4) | instskip(NEXT) | instid1(VALU_DEP_4)
	v_fmac_f32_e32 v114, 0xbf6c835e, v151
	v_fma_f32 v147, v148, 2.0, -v129
	v_fma_f32 v148, v113, 2.0, -v141
	;; [unrolled: 1-line block ×3, first 2 shown]
	v_fmamk_f32 v105, v142, 0x3f3504f3, v150
	v_fmac_f32_e32 v111, 0x3f6c835e, v126
	v_sub_f32_e32 v117, v147, v117
	v_fmamk_f32 v118, v131, 0xbf6c835e, v148
	s_delay_alu instid0(VALU_DEP_4) | instskip(SKIP_2) | instid1(VALU_DEP_4)
	v_dual_sub_f32 v136, v109, v136 :: v_dual_fmac_f32 v105, 0x3f3504f3, v119
	v_fma_f32 v126, v153, 2.0, -v110
	v_fma_f32 v127, v154, 2.0, -v111
	v_fmac_f32_e32 v118, 0xbec3ef15, v135
	s_delay_alu instid0(VALU_DEP_4)
	v_fma_f32 v152, v109, 2.0, -v136
	v_fmamk_f32 v104, v119, 0x3f3504f3, v136
	v_fmamk_f32 v109, v123, 0xbf3504f3, v133
	v_add_f32_e32 v113, v129, v115
	v_fmamk_f32 v115, v151, 0x3ec3ef15, v149
	v_fmamk_f32 v108, v122, 0xbf3504f3, v152
	v_fmac_f32_e32 v104, 0xbf3504f3, v142
	v_fmamk_f32 v119, v135, 0xbf6c835e, v155
	v_fmac_f32_e32 v109, 0x3f3504f3, v122
	v_fmac_f32_e32 v115, 0x3f6c835e, v124
	;; [unrolled: 1-line block ×3, first 2 shown]
	v_fma_f32 v122, v136, 2.0, -v104
	v_fma_f32 v123, v150, 2.0, -v105
	;; [unrolled: 1-line block ×3, first 2 shown]
	v_fmac_f32_e32 v119, 0x3ec3ef15, v131
	ds_store_2addr_stride64_b64 v137, v[104:105], v[106:107] offset0:56 offset1:60
	v_fma_f32 v106, v152, 2.0, -v108
	v_fma_f32 v107, v133, 2.0, -v109
	;; [unrolled: 1-line block ×7, first 2 shown]
	ds_store_2addr_stride64_b64 v137, v[122:123], v[124:125] offset0:24 offset1:28
	ds_store_2addr_stride64_b64 v137, v[108:109], v[110:111] offset0:40 offset1:44
	v_fma_f32 v108, v148, 2.0, -v118
	v_fma_f32 v109, v155, 2.0, -v119
	ds_store_2addr_stride64_b64 v137, v[112:113], v[114:115] offset0:48 offset1:52
	ds_store_2addr_stride64_b64 v137, v[106:107], v[126:127] offset0:8 offset1:12
	;; [unrolled: 1-line block ×4, first 2 shown]
	ds_store_2addr_stride64_b64 v137, v[104:105], v[108:109] offset1:4
	s_waitcnt lgkmcnt(0)
	s_barrier
	buffer_gl0_inv
	s_clause 0xf
	global_load_b64 v[104:105], v137, s[2:3]
	global_load_b64 v[106:107], v137, s[2:3] offset:2048
	global_load_b64 v[108:109], v94, s[2:3]
	global_load_b64 v[110:111], v95, s[2:3]
	;; [unrolled: 1-line block ×14, first 2 shown]
	v_mad_u64_u32 v[94:95], null, s6, v89, 0
	v_mad_u64_u32 v[96:97], null, s4, v0, 0
	ds_load_2addr_stride64_b64 v[140:143], v137 offset1:4
	ds_load_2addr_stride64_b64 v[144:147], v137 offset0:8 offset1:12
	ds_load_2addr_stride64_b64 v[148:151], v137 offset0:16 offset1:20
	ds_load_2addr_stride64_b64 v[152:155], v137 offset0:24 offset1:28
	ds_load_2addr_stride64_b64 v[156:159], v137 offset0:32 offset1:36
	ds_load_2addr_stride64_b64 v[160:163], v137 offset0:40 offset1:44
	ds_load_2addr_stride64_b64 v[164:167], v137 offset0:48 offset1:52
	ds_load_2addr_stride64_b64 v[168:171], v137 offset0:56 offset1:60
	v_mad_u64_u32 v[98:99], null, s7, v89, v[95:96]
	s_delay_alu instid0(VALU_DEP_1) | instskip(SKIP_1) | instid1(VALU_DEP_1)
	v_mad_u64_u32 v[99:100], null, s5, v0, v[97:98]
	v_mov_b32_e32 v95, v98
	v_lshlrev_b64 v[94:95], 3, v[94:95]
	s_delay_alu instid0(VALU_DEP_3) | instskip(NEXT) | instid1(VALU_DEP_1)
	v_mov_b32_e32 v97, v99
	v_lshlrev_b64 v[96:97], 3, v[96:97]
	s_delay_alu instid0(VALU_DEP_3) | instskip(NEXT) | instid1(VALU_DEP_4)
	v_add_co_u32 v0, vcc_lo, s0, v94
	v_add_co_ci_u32_e32 v89, vcc_lo, s1, v95, vcc_lo
	s_lshl_b64 s[0:1], s[4:5], 11
	s_delay_alu instid0(VALU_DEP_2) | instskip(NEXT) | instid1(VALU_DEP_2)
	v_add_co_u32 v94, vcc_lo, v0, v96
	v_add_co_ci_u32_e32 v95, vcc_lo, v89, v97, vcc_lo
	s_delay_alu instid0(VALU_DEP_2) | instskip(NEXT) | instid1(VALU_DEP_2)
	v_add_co_u32 v96, vcc_lo, v94, s0
	v_add_co_ci_u32_e32 v97, vcc_lo, s1, v95, vcc_lo
	;; [unrolled: 3-line block ×5, first 2 shown]
	s_delay_alu instid0(VALU_DEP_2)
	v_add_co_u32 v134, vcc_lo, v102, s0
	s_waitcnt vmcnt(15) lgkmcnt(7)
	v_mul_f32_e32 v0, v141, v105
	v_mul_f32_e32 v173, v140, v105
	s_waitcnt vmcnt(14)
	v_mul_f32_e32 v89, v143, v107
	s_waitcnt vmcnt(13) lgkmcnt(6)
	v_dual_mul_f32 v105, v142, v107 :: v_dual_mul_f32 v174, v145, v109
	v_mul_f32_e32 v107, v144, v109
	s_waitcnt vmcnt(12)
	v_mul_f32_e32 v175, v147, v111
	v_fma_f32 v172, v140, v104, -v0
	v_fmac_f32_e32 v173, v141, v104
	s_waitcnt vmcnt(11) lgkmcnt(5)
	v_dual_mul_f32 v109, v146, v111 :: v_dual_mul_f32 v0, v149, v113
	v_fma_f32 v104, v142, v106, -v89
	v_mul_f32_e32 v111, v148, v113
	s_waitcnt vmcnt(10)
	v_mul_f32_e32 v89, v151, v115
	s_waitcnt vmcnt(9) lgkmcnt(4)
	v_dual_mul_f32 v113, v150, v115 :: v_dual_mul_f32 v140, v153, v117
	v_mul_f32_e32 v115, v152, v117
	s_waitcnt vmcnt(8)
	v_mul_f32_e32 v141, v155, v119
	v_mul_f32_e32 v117, v154, v119
	v_fmac_f32_e32 v105, v143, v106
	v_fma_f32 v106, v144, v108, -v174
	v_fmac_f32_e32 v107, v145, v108
	v_fma_f32 v108, v146, v110, -v175
	s_waitcnt vmcnt(7) lgkmcnt(3)
	v_dual_fmac_f32 v109, v147, v110 :: v_dual_mul_f32 v142, v157, v121
	v_mul_f32_e32 v119, v156, v121
	s_waitcnt vmcnt(6)
	v_mul_f32_e32 v143, v159, v123
	v_mul_f32_e32 v121, v158, v123
	v_fma_f32 v110, v148, v112, -v0
	s_waitcnt vmcnt(5) lgkmcnt(2)
	v_mul_f32_e32 v0, v161, v125
	v_fmac_f32_e32 v111, v149, v112
	v_mul_f32_e32 v123, v160, v125
	v_fma_f32 v112, v150, v114, -v89
	s_waitcnt vmcnt(4)
	v_mul_f32_e32 v89, v163, v127
	v_fmac_f32_e32 v113, v151, v114
	s_waitcnt vmcnt(3) lgkmcnt(1)
	v_dual_mul_f32 v125, v162, v127 :: v_dual_mul_f32 v144, v165, v129
	v_mul_f32_e32 v127, v164, v129
	s_waitcnt vmcnt(2)
	v_mul_f32_e32 v145, v167, v131
	v_fma_f32 v114, v152, v116, -v140
	s_waitcnt vmcnt(1) lgkmcnt(0)
	v_dual_mul_f32 v129, v166, v131 :: v_dual_mul_f32 v140, v169, v133
	v_fmac_f32_e32 v115, v153, v116
	v_fma_f32 v116, v154, v118, -v141
	v_mul_f32_e32 v131, v168, v133
	s_waitcnt vmcnt(0)
	v_mul_f32_e32 v141, v171, v136
	v_mul_f32_e32 v133, v170, v136
	v_fmac_f32_e32 v117, v155, v118
	v_fma_f32 v118, v156, v120, -v142
	v_fmac_f32_e32 v119, v157, v120
	v_fma_f32 v120, v158, v122, -v143
	;; [unrolled: 2-line block ×8, first 2 shown]
	v_fmac_f32_e32 v133, v171, v135
	ds_store_2addr_stride64_b64 v137, v[172:173], v[104:105] offset1:4
	ds_store_2addr_stride64_b64 v137, v[106:107], v[108:109] offset0:8 offset1:12
	ds_store_2addr_stride64_b64 v137, v[110:111], v[112:113] offset0:16 offset1:20
	;; [unrolled: 1-line block ×7, first 2 shown]
	s_waitcnt lgkmcnt(0)
	s_barrier
	buffer_gl0_inv
	ds_load_2addr_stride64_b64 v[107:110], v137 offset1:4
	ds_load_2addr_stride64_b64 v[111:114], v137 offset0:32 offset1:36
	ds_load_2addr_stride64_b64 v[115:118], v137 offset0:16 offset1:20
	;; [unrolled: 1-line block ×7, first 2 shown]
	s_waitcnt lgkmcnt(0)
	s_barrier
	buffer_gl0_inv
	v_add_co_ci_u32_e32 v135, vcc_lo, s1, v103, vcc_lo
	v_add_co_u32 v104, vcc_lo, v134, s0
	s_delay_alu instid0(VALU_DEP_2) | instskip(NEXT) | instid1(VALU_DEP_2)
	v_add_co_ci_u32_e32 v105, vcc_lo, s1, v135, vcc_lo
	v_add_co_u32 v106, vcc_lo, v104, s0
	v_dual_sub_f32 v0, v107, v111 :: v_dual_sub_f32 v89, v108, v112
	v_dual_sub_f32 v111, v115, v119 :: v_dual_sub_f32 v112, v116, v120
	;; [unrolled: 1-line block ×8, first 2 shown]
	v_fma_f32 v107, v107, 2.0, -v0
	v_fma_f32 v108, v108, 2.0, -v89
	;; [unrolled: 1-line block ×16, first 2 shown]
	v_dual_add_f32 v112, v0, v112 :: v_dual_sub_f32 v111, v89, v111
	v_dual_add_f32 v128, v119, v128 :: v_dual_sub_f32 v127, v120, v127
	;; [unrolled: 1-line block ×4, first 2 shown]
	v_dual_sub_f32 v115, v107, v115 :: v_dual_sub_f32 v116, v108, v116
	v_fma_f32 v0, v0, 2.0, -v112
	v_fma_f32 v89, v89, 2.0, -v111
	v_dual_sub_f32 v133, v123, v133 :: v_dual_sub_f32 v136, v124, v136
	v_fma_f32 v119, v119, 2.0, -v128
	v_fma_f32 v120, v120, 2.0, -v127
	;; [unrolled: 3-line block ×4, first 2 shown]
	v_dual_fmamk_f32 v142, v128, 0x3f3504f3, v112 :: v_dual_fmamk_f32 v143, v127, 0x3f3504f3, v111
	v_dual_fmamk_f32 v144, v132, 0x3f3504f3, v122 :: v_dual_fmamk_f32 v145, v131, 0x3f3504f3, v121
	v_fma_f32 v146, v107, 2.0, -v115
	v_fma_f32 v147, v108, 2.0, -v116
	;; [unrolled: 1-line block ×8, first 2 shown]
	v_dual_fmamk_f32 v125, v119, 0xbf3504f3, v0 :: v_dual_fmamk_f32 v126, v120, 0xbf3504f3, v89
	v_fmac_f32_e32 v142, 0x3f3504f3, v127
	v_fmac_f32_e32 v143, 0xbf3504f3, v128
	v_dual_fmamk_f32 v127, v129, 0xbf3504f3, v113 :: v_dual_fmamk_f32 v128, v130, 0xbf3504f3, v114
	v_dual_add_f32 v136, v115, v136 :: v_dual_sub_f32 v133, v116, v133
	v_dual_add_f32 v141, v117, v141 :: v_dual_sub_f32 v140, v118, v140
	v_fmac_f32_e32 v144, 0x3f3504f3, v131
	v_fmac_f32_e32 v145, 0xbf3504f3, v132
	;; [unrolled: 1-line block ×6, first 2 shown]
	v_fma_f32 v148, v115, 2.0, -v136
	v_fma_f32 v149, v116, 2.0, -v133
	;; [unrolled: 1-line block ×8, first 2 shown]
	v_dual_sub_f32 v131, v146, v107 :: v_dual_sub_f32 v132, v147, v108
	v_dual_sub_f32 v116, v123, v109 :: v_dual_sub_f32 v115, v124, v110
	v_fma_f32 v0, v0, 2.0, -v125
	v_fma_f32 v89, v89, 2.0, -v126
	;; [unrolled: 1-line block ×4, first 2 shown]
	v_dual_fmamk_f32 v107, v141, 0x3f3504f3, v136 :: v_dual_fmamk_f32 v108, v140, 0x3f3504f3, v133
	v_dual_fmamk_f32 v109, v144, 0x3f6c835e, v142 :: v_dual_fmamk_f32 v110, v145, 0x3f6c835e, v143
	;; [unrolled: 1-line block ×5, first 2 shown]
	v_fma_f32 v146, v146, 2.0, -v131
	v_fma_f32 v147, v147, 2.0, -v132
	;; [unrolled: 1-line block ×4, first 2 shown]
	v_dual_fmamk_f32 v121, v154, 0xbf6c835e, v0 :: v_dual_fmamk_f32 v122, v155, 0xbf6c835e, v89
	v_dual_add_f32 v115, v131, v115 :: v_dual_sub_f32 v116, v132, v116
	v_fmac_f32_e32 v107, 0x3f3504f3, v140
	v_fmac_f32_e32 v108, 0xbf3504f3, v141
	v_fmac_f32_e32 v109, 0x3ec3ef15, v145
	v_fmac_f32_e32 v110, 0xbec3ef15, v144
	v_fmac_f32_e32 v117, 0x3f6c835e, v128
	v_fmac_f32_e32 v118, 0xbf6c835e, v127
	v_fmac_f32_e32 v111, 0x3f3504f3, v130
	v_fmac_f32_e32 v112, 0xbf3504f3, v129
	v_fmac_f32_e32 v113, 0x3f6c835e, v153
	v_dual_fmac_f32 v114, 0xbf6c835e, v152 :: v_dual_sub_f32 v119, v146, v119
	v_dual_sub_f32 v120, v147, v120 :: v_dual_fmac_f32 v121, 0x3ec3ef15, v155
	v_fmac_f32_e32 v122, 0xbec3ef15, v154
	v_fma_f32 v123, v131, 2.0, -v115
	v_fma_f32 v124, v132, 2.0, -v116
	;; [unrolled: 1-line block ×12, first 2 shown]
	ds_store_b128 v138, v[107:110] offset:112
	v_fma_f32 v107, v146, 2.0, -v119
	v_fma_f32 v108, v147, 2.0, -v120
	;; [unrolled: 1-line block ×4, first 2 shown]
	ds_store_b128 v138, v[115:118] offset:96
	ds_store_b128 v138, v[127:130] offset:48
	;; [unrolled: 1-line block ×6, first 2 shown]
	ds_store_b128 v138, v[107:110]
	s_waitcnt lgkmcnt(0)
	s_barrier
	buffer_gl0_inv
	ds_load_2addr_stride64_b64 v[112:115], v137 offset1:4
	ds_load_2addr_stride64_b64 v[116:119], v137 offset0:8 offset1:12
	ds_load_2addr_stride64_b64 v[120:123], v137 offset0:16 offset1:20
	;; [unrolled: 1-line block ×7, first 2 shown]
	s_waitcnt lgkmcnt(0)
	s_barrier
	buffer_gl0_inv
	v_add_co_ci_u32_e32 v107, vcc_lo, s1, v105, vcc_lo
	v_add_co_u32 v108, vcc_lo, v106, s0
	s_delay_alu instid0(VALU_DEP_2) | instskip(NEXT) | instid1(VALU_DEP_2)
	v_add_co_ci_u32_e32 v109, vcc_lo, s1, v107, vcc_lo
	v_add_co_u32 v110, vcc_lo, v108, s0
	s_delay_alu instid0(VALU_DEP_2)
	v_add_co_ci_u32_e32 v111, vcc_lo, s1, v109, vcc_lo
	v_mul_f32_e32 v0, v14, v115
	v_mul_f32_e32 v132, v10, v119
	;; [unrolled: 1-line block ×10, first 2 shown]
	v_dual_mul_f32 v160, v91, v151 :: v_dual_mul_f32 v157, v24, v145
	v_mul_f32_e32 v24, v24, v144
	v_fmac_f32_e32 v132, v9, v118
	v_fma_f32 v9, v9, v119, -v10
	v_fmac_f32_e32 v136, v5, v122
	v_fma_f32 v5, v5, v123, -v6
	v_fmac_f32_e32 v138, v7, v124
	v_fma_f32 v6, v7, v125, -v8
	v_fmac_f32_e32 v152, v1, v126
	v_fma_f32 v7, v21, v143, -v22
	v_fmac_f32_e32 v160, v90, v150
	v_dual_mul_f32 v14, v14, v114 :: v_dual_mul_f32 v89, v16, v117
	v_dual_mul_f32 v16, v16, v116 :: v_dual_mul_f32 v91, v91, v150
	v_fmac_f32_e32 v157, v23, v144
	v_fma_f32 v8, v23, v145, -v24
	v_sub_f32_e32 v7, v9, v7
	v_dual_sub_f32 v23, v152, v160 :: v_dual_fmac_f32 v0, v13, v114
	v_fma_f32 v13, v13, v115, -v14
	v_fmac_f32_e32 v89, v15, v116
	v_fma_f32 v14, v15, v117, -v16
	v_fma_f32 v15, v90, v151, -v91
	v_fma_f32 v91, v152, 2.0, -v23
	v_dual_sub_f32 v23, v7, v23 :: v_dual_mul_f32 v2, v2, v126
	v_mul_f32_e32 v154, v26, v131
	v_mul_f32_e32 v158, v18, v147
	v_mul_f32_e32 v18, v18, v146
	v_fma_f32 v9, v9, 2.0, -v7
	v_fma_f32 v7, v7, 2.0, -v23
	v_mul_f32_e32 v133, v12, v121
	v_mul_f32_e32 v12, v12, v120
	v_mul_f32_e32 v159, v20, v149
	v_mul_f32_e32 v20, v20, v148
	v_fma_f32 v1, v1, v127, -v2
	v_fmac_f32_e32 v133, v11, v120
	v_fma_f32 v10, v11, v121, -v12
	v_fmac_f32_e32 v154, v25, v130
	v_fmac_f32_e32 v156, v21, v142
	v_fma_f32 v11, v17, v147, -v18
	v_fma_f32 v12, v19, v149, -v20
	s_delay_alu instid0(VALU_DEP_4) | instskip(NEXT) | instid1(VALU_DEP_3)
	v_dual_sub_f32 v15, v1, v15 :: v_dual_sub_f32 v20, v0, v154
	v_dual_sub_f32 v22, v132, v156 :: v_dual_sub_f32 v11, v5, v11
	v_mul_f32_e32 v26, v26, v130
	s_delay_alu instid0(VALU_DEP_3) | instskip(NEXT) | instid1(VALU_DEP_3)
	v_fma_f32 v1, v1, 2.0, -v15
	v_dual_fmac_f32 v158, v17, v146 :: v_dual_add_f32 v15, v22, v15
	s_delay_alu instid0(VALU_DEP_4) | instskip(SKIP_4) | instid1(VALU_DEP_4)
	v_fma_f32 v5, v5, 2.0, -v11
	v_add_f32_e32 v11, v20, v11
	v_fma_f32 v90, v132, 2.0, -v22
	v_fmac_f32_e32 v159, v19, v148
	v_fma_f32 v22, v22, 2.0, -v15
	v_dual_mul_f32 v153, v4, v129 :: v_dual_fmamk_f32 v114, v15, 0x3f3504f3, v11
	v_dual_mul_f32 v4, v4, v128 :: v_dual_sub_f32 v17, v133, v157
	v_sub_f32_e32 v8, v10, v8
	s_delay_alu instid0(VALU_DEP_3) | instskip(SKIP_4) | instid1(VALU_DEP_4)
	v_dual_fmac_f32 v153, v3, v128 :: v_dual_fmac_f32 v114, 0x3f3504f3, v23
	v_mul_f32_e32 v155, v28, v141
	v_mul_f32_e32 v28, v28, v140
	v_fma_f32 v2, v3, v129, -v4
	v_fma_f32 v3, v25, v131, -v26
	v_dual_sub_f32 v16, v112, v153 :: v_dual_fmac_f32 v155, v27, v140
	s_delay_alu instid0(VALU_DEP_4) | instskip(NEXT) | instid1(VALU_DEP_4)
	v_fma_f32 v4, v27, v141, -v28
	v_dual_sub_f32 v2, v113, v2 :: v_dual_sub_f32 v19, v138, v159
	v_sub_f32_e32 v12, v6, v12
	s_delay_alu instid0(VALU_DEP_4) | instskip(NEXT) | instid1(VALU_DEP_4)
	v_sub_f32_e32 v18, v89, v155
	v_dual_sub_f32 v4, v14, v4 :: v_dual_sub_f32 v3, v13, v3
	v_sub_f32_e32 v21, v136, v158
	v_fma_f32 v24, v112, 2.0, -v16
	v_fma_f32 v25, v113, 2.0, -v2
	v_fma_f32 v26, v133, 2.0, -v17
	v_fma_f32 v10, v10, 2.0, -v8
	v_fma_f32 v27, v89, 2.0, -v18
	v_fma_f32 v28, v138, 2.0, -v19
	v_fma_f32 v6, v6, 2.0, -v12
	v_fma_f32 v0, v0, 2.0, -v20
	v_fma_f32 v89, v136, 2.0, -v21
	v_dual_add_f32 v8, v16, v8 :: v_dual_sub_f32 v17, v2, v17
	v_dual_add_f32 v12, v18, v12 :: v_dual_sub_f32 v19, v4, v19
	v_sub_f32_e32 v21, v3, v21
	v_fma_f32 v14, v14, 2.0, -v4
	v_fma_f32 v13, v13, 2.0, -v3
	v_sub_f32_e32 v26, v24, v26
	v_sub_f32_e32 v10, v25, v10
	v_fma_f32 v16, v16, 2.0, -v8
	v_fma_f32 v112, v2, 2.0, -v17
	v_sub_f32_e32 v2, v27, v28
	v_fma_f32 v18, v18, 2.0, -v12
	v_fma_f32 v4, v4, 2.0, -v19
	;; [unrolled: 3-line block ×3, first 2 shown]
	v_sub_f32_e32 v3, v90, v91
	v_dual_fmamk_f32 v91, v12, 0x3f3504f3, v8 :: v_dual_sub_f32 v6, v14, v6
	v_sub_f32_e32 v5, v13, v5
	v_sub_f32_e32 v1, v9, v1
	v_fmamk_f32 v113, v19, 0x3f3504f3, v17
	v_fmamk_f32 v115, v23, 0x3f3504f3, v21
	v_fma_f32 v24, v24, 2.0, -v26
	v_fma_f32 v27, v27, 2.0, -v2
	;; [unrolled: 1-line block ×4, first 2 shown]
	v_fmamk_f32 v90, v18, 0xbf3504f3, v16
	v_fmamk_f32 v117, v4, 0xbf3504f3, v112
	v_sub_f32_e32 v119, v10, v2
	v_fmac_f32_e32 v91, 0x3f3504f3, v19
	v_dual_fmamk_f32 v19, v22, 0xbf3504f3, v20 :: v_dual_fmamk_f32 v120, v7, 0xbf3504f3, v89
	v_dual_add_f32 v118, v26, v6 :: v_dual_fmac_f32 v113, 0xbf3504f3, v12
	v_dual_add_f32 v12, v28, v1 :: v_dual_sub_f32 v121, v5, v3
	v_fmac_f32_e32 v115, 0xbf3504f3, v15
	v_fma_f32 v25, v25, 2.0, -v10
	v_fma_f32 v14, v14, 2.0, -v6
	;; [unrolled: 1-line block ×4, first 2 shown]
	v_dual_sub_f32 v23, v24, v27 :: v_dual_fmac_f32 v90, 0x3f3504f3, v4
	v_fmac_f32_e32 v117, 0xbf3504f3, v18
	v_fma_f32 v122, v10, 2.0, -v119
	v_dual_sub_f32 v10, v116, v0 :: v_dual_fmac_f32 v19, 0x3f3504f3, v7
	v_fmac_f32_e32 v120, 0xbf3504f3, v22
	v_fma_f32 v26, v26, 2.0, -v118
	v_fma_f32 v123, v8, 2.0, -v91
	;; [unrolled: 1-line block ×7, first 2 shown]
	v_sub_f32_e32 v27, v25, v14
	v_sub_f32_e32 v8, v13, v9
	v_dual_fmamk_f32 v0, v12, 0x3f3504f3, v118 :: v_dual_fmamk_f32 v1, v121, 0x3f3504f3, v119
	v_fmamk_f32 v2, v114, 0x3f6c835e, v91
	v_fmamk_f32 v3, v115, 0x3f6c835e, v113
	v_fma_f32 v24, v24, 2.0, -v23
	v_fma_f32 v28, v16, 2.0, -v90
	;; [unrolled: 1-line block ×6, first 2 shown]
	v_fmamk_f32 v4, v17, 0xbf3504f3, v26
	v_fmamk_f32 v5, v18, 0xbf3504f3, v122
	v_dual_fmamk_f32 v6, v22, 0xbec3ef15, v123 :: v_dual_fmamk_f32 v7, v21, 0xbec3ef15, v124
	v_fma_f32 v25, v25, 2.0, -v27
	v_fma_f32 v13, v13, 2.0, -v8
	v_sub_f32_e32 v9, v27, v10
	v_dual_fmamk_f32 v10, v19, 0x3ec3ef15, v90 :: v_dual_fmamk_f32 v11, v120, 0x3ec3ef15, v117
	v_fmac_f32_e32 v0, 0x3f3504f3, v121
	v_fmac_f32_e32 v1, 0xbf3504f3, v12
	;; [unrolled: 1-line block ×4, first 2 shown]
	v_sub_f32_e32 v12, v24, v14
	v_fmamk_f32 v14, v116, 0xbf6c835e, v28
	v_dual_fmamk_f32 v15, v89, 0xbf6c835e, v112 :: v_dual_add_f32 v8, v23, v8
	v_fmac_f32_e32 v4, 0x3f3504f3, v18
	v_fmac_f32_e32 v5, 0xbf3504f3, v17
	;; [unrolled: 1-line block ×4, first 2 shown]
	v_dual_sub_f32 v13, v25, v13 :: v_dual_fmac_f32 v10, 0x3f6c835e, v120
	v_fmac_f32_e32 v11, 0xbf6c835e, v19
	v_fma_f32 v18, v118, 2.0, -v0
	v_fma_f32 v19, v119, 2.0, -v1
	;; [unrolled: 1-line block ×4, first 2 shown]
	v_fmac_f32_e32 v14, 0x3ec3ef15, v89
	v_fmac_f32_e32 v15, 0xbec3ef15, v116
	v_fma_f32 v16, v23, 2.0, -v8
	ds_store_2addr_b64 v139, v[0:1], v[2:3] offset0:224 offset1:240
	v_fma_f32 v2, v26, 2.0, -v4
	v_fma_f32 v3, v122, 2.0, -v5
	;; [unrolled: 1-line block ×9, first 2 shown]
	ds_store_2addr_b64 v139, v[18:19], v[20:21] offset0:96 offset1:112
	ds_store_2addr_b64 v139, v[4:5], v[6:7] offset0:160 offset1:176
	v_fma_f32 v4, v28, 2.0, -v14
	v_fma_f32 v5, v112, 2.0, -v15
	ds_store_2addr_b64 v139, v[8:9], v[10:11] offset0:192 offset1:208
	ds_store_2addr_b64 v139, v[2:3], v[22:23] offset0:32 offset1:48
	;; [unrolled: 1-line block ×4, first 2 shown]
	ds_store_2addr_b64 v139, v[0:1], v[4:5] offset1:16
	s_waitcnt lgkmcnt(0)
	s_barrier
	buffer_gl0_inv
	ds_load_2addr_stride64_b64 v[0:3], v137 offset1:4
	ds_load_2addr_stride64_b64 v[4:7], v137 offset0:8 offset1:12
	ds_load_2addr_stride64_b64 v[8:11], v137 offset0:16 offset1:20
	;; [unrolled: 1-line block ×7, first 2 shown]
	v_add_co_u32 v89, vcc_lo, v110, s0
	v_add_co_ci_u32_e32 v90, vcc_lo, s1, v111, vcc_lo
	s_delay_alu instid0(VALU_DEP_2) | instskip(NEXT) | instid1(VALU_DEP_2)
	v_add_co_u32 v116, vcc_lo, v89, s0
	v_add_co_ci_u32_e32 v117, vcc_lo, s1, v90, vcc_lo
	s_delay_alu instid0(VALU_DEP_2) | instskip(NEXT) | instid1(VALU_DEP_2)
	v_add_co_u32 v118, vcc_lo, v116, s0
	v_add_co_ci_u32_e32 v119, vcc_lo, s1, v117, vcc_lo
	s_waitcnt lgkmcnt(7)
	v_mul_f32_e32 v28, v42, v3
	s_waitcnt lgkmcnt(6)
	v_mul_f32_e32 v120, v38, v7
	;; [unrolled: 2-line block ×3, first 2 shown]
	v_mul_f32_e32 v34, v34, v10
	s_waitcnt lgkmcnt(4)
	v_mul_f32_e32 v124, v30, v15
	s_waitcnt lgkmcnt(3)
	v_mul_f32_e32 v126, v54, v19
	s_waitcnt lgkmcnt(1)
	v_mul_f32_e32 v130, v46, v27
	v_mul_f32_e32 v46, v46, v26
	v_dual_mul_f32 v42, v42, v2 :: v_dual_mul_f32 v91, v44, v5
	v_mul_f32_e32 v44, v44, v4
	v_dual_mul_f32 v38, v38, v6 :: v_dual_mul_f32 v123, v36, v13
	v_dual_mul_f32 v30, v30, v14 :: v_dual_mul_f32 v127, v56, v21
	v_mul_f32_e32 v56, v56, v20
	s_waitcnt lgkmcnt(0)
	v_dual_mul_f32 v131, v48, v113 :: v_dual_fmac_f32 v28, v41, v2
	v_fmac_f32_e32 v120, v37, v6
	v_fma_f32 v6, v33, v11, -v34
	v_fmac_f32_e32 v124, v29, v14
	v_fmac_f32_e32 v126, v53, v18
	v_fma_f32 v14, v45, v27, -v46
	v_mul_f32_e32 v128, v50, v23
	v_mul_f32_e32 v50, v50, v22
	v_fma_f32 v2, v41, v3, -v42
	v_fma_f32 v3, v43, v5, -v44
	v_fmac_f32_e32 v123, v35, v12
	v_fma_f32 v11, v55, v21, -v56
	v_fmac_f32_e32 v131, v47, v112
	v_sub_f32_e32 v21, v28, v126
	v_sub_f32_e32 v14, v6, v14
	v_mul_f32_e32 v36, v36, v12
	v_fmac_f32_e32 v127, v55, v20
	v_fma_f32 v12, v49, v23, -v50
	v_sub_f32_e32 v11, v3, v11
	v_sub_f32_e32 v20, v123, v131
	v_fma_f32 v6, v6, 2.0, -v14
	v_dual_add_f32 v14, v21, v14 :: v_dual_fmac_f32 v91, v43, v4
	v_fma_f32 v4, v37, v7, -v38
	v_dual_mul_f32 v121, v40, v9 :: v_dual_mul_f32 v132, v93, v115
	v_fma_f32 v27, v123, 2.0, -v20
	v_dual_sub_f32 v20, v11, v20 :: v_dual_mul_f32 v125, v32, v17
	s_delay_alu instid0(VALU_DEP_4)
	v_dual_sub_f32 v12, v4, v12 :: v_dual_mul_f32 v93, v93, v114
	v_mul_f32_e32 v40, v40, v8
	v_mul_f32_e32 v32, v32, v16
	v_fmac_f32_e32 v121, v39, v8
	v_fma_f32 v8, v29, v15, -v30
	v_dual_fmac_f32 v125, v31, v16 :: v_dual_fmac_f32 v128, v49, v22
	v_fma_f32 v16, v92, v115, -v93
	v_mul_f32_e32 v54, v54, v18
	v_fmac_f32_e32 v122, v33, v10
	s_delay_alu instid0(VALU_DEP_4) | instskip(NEXT) | instid1(VALU_DEP_4)
	v_dual_fmac_f32 v130, v45, v26 :: v_dual_sub_f32 v23, v120, v128
	v_sub_f32_e32 v16, v8, v16
	s_delay_alu instid0(VALU_DEP_4) | instskip(SKIP_1) | instid1(VALU_DEP_4)
	v_fma_f32 v10, v53, v19, -v54
	v_fmac_f32_e32 v132, v92, v114
	v_sub_f32_e32 v22, v122, v130
	v_fma_f32 v30, v120, 2.0, -v23
	v_fma_f32 v8, v8, 2.0, -v16
	v_add_f32_e32 v16, v23, v16
	v_sub_f32_e32 v10, v2, v10
	v_fma_f32 v5, v39, v9, -v40
	v_fma_f32 v9, v31, v17, -v32
	v_fma_f32 v29, v122, 2.0, -v22
	v_fmamk_f32 v34, v16, 0x3f3504f3, v14
	v_mul_f32_e32 v129, v52, v25
	v_mul_f32_e32 v52, v52, v24
	v_fma_f32 v23, v23, 2.0, -v16
	v_sub_f32_e32 v22, v10, v22
	v_fma_f32 v2, v2, 2.0, -v10
	v_fmac_f32_e32 v129, v51, v24
	v_sub_f32_e32 v24, v124, v132
	v_fma_f32 v4, v4, 2.0, -v12
	v_fma_f32 v10, v10, 2.0, -v22
	v_mul_f32_e32 v48, v48, v112
	v_fma_f32 v7, v35, v13, -v36
	v_fma_f32 v31, v124, 2.0, -v24
	v_dual_sub_f32 v24, v12, v24 :: v_dual_sub_f32 v9, v1, v9
	v_sub_f32_e32 v8, v4, v8
	v_fma_f32 v15, v47, v113, -v48
	v_fma_f32 v13, v51, v25, -v52
	s_delay_alu instid0(VALU_DEP_4)
	v_fma_f32 v12, v12, 2.0, -v24
	v_sub_f32_e32 v19, v91, v127
	v_fma_f32 v1, v1, 2.0, -v9
	v_sub_f32_e32 v15, v7, v15
	v_fma_f32 v3, v3, 2.0, -v11
	v_fmamk_f32 v40, v12, 0xbf3504f3, v10
	v_fma_f32 v11, v11, 2.0, -v20
	v_fma_f32 v26, v91, 2.0, -v19
	;; [unrolled: 1-line block ×3, first 2 shown]
	v_add_f32_e32 v15, v19, v15
	v_fmac_f32_e32 v40, 0xbf3504f3, v23
	v_sub_f32_e32 v18, v121, v129
	v_sub_f32_e32 v13, v5, v13
	v_fma_f32 v28, v28, 2.0, -v21
	v_fma_f32 v19, v19, 2.0, -v15
	;; [unrolled: 1-line block ×4, first 2 shown]
	v_sub_f32_e32 v18, v9, v18
	v_fma_f32 v5, v5, 2.0, -v13
	v_fmamk_f32 v35, v24, 0x3f3504f3, v22
	v_dual_sub_f32 v29, v28, v29 :: v_dual_sub_f32 v6, v2, v6
	s_delay_alu instid0(VALU_DEP_4) | instskip(SKIP_1) | instid1(VALU_DEP_4)
	v_fma_f32 v9, v9, 2.0, -v18
	v_fmamk_f32 v33, v20, 0x3f3504f3, v18
	v_fmac_f32_e32 v35, 0xbf3504f3, v16
	v_sub_f32_e32 v31, v30, v31
	v_sub_f32_e32 v7, v3, v7
	v_fmamk_f32 v38, v11, 0xbf3504f3, v9
	v_fmac_f32_e32 v33, 0xbf3504f3, v15
	v_fma_f32 v22, v22, 2.0, -v35
	v_dual_sub_f32 v27, v26, v27 :: v_dual_fmac_f32 v34, 0x3f3504f3, v24
	s_delay_alu instid0(VALU_DEP_4) | instskip(NEXT) | instid1(VALU_DEP_4)
	v_dual_fmac_f32 v38, 0xbf3504f3, v19 :: v_dual_sub_f32 v17, v0, v125
	v_fma_f32 v43, v18, 2.0, -v33
	s_delay_alu instid0(VALU_DEP_2) | instskip(NEXT) | instid1(VALU_DEP_3)
	v_fma_f32 v44, v9, 2.0, -v38
	v_add_f32_e32 v13, v17, v13
	s_delay_alu instid0(VALU_DEP_1) | instskip(NEXT) | instid1(VALU_DEP_1)
	v_dual_fmamk_f32 v32, v15, 0x3f3504f3, v13 :: v_dual_add_f32 v15, v29, v8
	v_fmac_f32_e32 v32, 0x3f3504f3, v20
	v_fmamk_f32 v20, v23, 0xbf3504f3, v21
	s_delay_alu instid0(VALU_DEP_3) | instskip(SKIP_1) | instid1(VALU_DEP_4)
	v_fma_f32 v18, v29, 2.0, -v15
	v_fma_f32 v23, v14, 2.0, -v34
	;; [unrolled: 1-line block ×3, first 2 shown]
	s_delay_alu instid0(VALU_DEP_4) | instskip(SKIP_2) | instid1(VALU_DEP_2)
	v_fmac_f32_e32 v20, 0x3f3504f3, v12
	v_fma_f32 v0, v0, 2.0, -v17
	v_fma_f32 v17, v17, 2.0, -v13
	v_sub_f32_e32 v25, v0, v25
	s_delay_alu instid0(VALU_DEP_1)
	v_fma_f32 v36, v0, 2.0, -v25
	v_fma_f32 v0, v26, 2.0, -v27
	;; [unrolled: 1-line block ×5, first 2 shown]
	v_fmamk_f32 v30, v19, 0xbf3504f3, v17
	v_sub_f32_e32 v16, v36, v0
	s_delay_alu instid0(VALU_DEP_2) | instskip(NEXT) | instid1(VALU_DEP_2)
	v_dual_fmac_f32 v30, 0x3f3504f3, v11 :: v_dual_sub_f32 v11, v26, v2
	v_fma_f32 v29, v36, 2.0, -v16
	v_fmamk_f32 v2, v34, 0x3f6c835e, v32
	s_delay_alu instid0(VALU_DEP_3) | instskip(SKIP_1) | instid1(VALU_DEP_3)
	v_fma_f32 v12, v26, 2.0, -v11
	v_fma_f32 v26, v21, 2.0, -v20
	v_dual_sub_f32 v5, v1, v5 :: v_dual_fmac_f32 v2, 0x3ec3ef15, v35
	s_delay_alu instid0(VALU_DEP_3) | instskip(NEXT) | instid1(VALU_DEP_2)
	v_sub_f32_e32 v12, v29, v12
	v_fma_f32 v37, v1, 2.0, -v5
	v_fma_f32 v1, v3, 2.0, -v7
	;; [unrolled: 1-line block ×3, first 2 shown]
	s_delay_alu instid0(VALU_DEP_2) | instskip(NEXT) | instid1(VALU_DEP_2)
	v_sub_f32_e32 v24, v37, v1
	v_dual_sub_f32 v8, v28, v3 :: v_dual_fmamk_f32 v3, v35, 0x3f6c835e, v33
	s_delay_alu instid0(VALU_DEP_2) | instskip(SKIP_1) | instid1(VALU_DEP_3)
	v_fma_f32 v36, v37, 2.0, -v24
	v_fma_f32 v37, v17, 2.0, -v30
	;; [unrolled: 1-line block ×4, first 2 shown]
	v_fmamk_f32 v10, v20, 0x3ec3ef15, v30
	s_delay_alu instid0(VALU_DEP_4) | instskip(SKIP_2) | instid1(VALU_DEP_4)
	v_dual_sub_f32 v9, v24, v11 :: v_dual_fmamk_f32 v14, v26, 0xbf6c835e, v37
	v_fmamk_f32 v11, v40, 0x3ec3ef15, v38
	v_fmac_f32_e32 v3, 0xbec3ef15, v34
	v_dual_fmac_f32 v10, 0x3f6c835e, v40 :: v_dual_add_f32 v39, v25, v7
	s_delay_alu instid0(VALU_DEP_4) | instskip(SKIP_1) | instid1(VALU_DEP_3)
	v_dual_fmac_f32 v14, 0x3ec3ef15, v28 :: v_dual_sub_f32 v31, v6, v31
	v_dual_fmamk_f32 v7, v22, 0xbec3ef15, v43 :: v_dual_add_f32 v8, v16, v8
	v_fma_f32 v25, v25, 2.0, -v39
	v_fmamk_f32 v0, v15, 0x3f3504f3, v39
	s_delay_alu instid0(VALU_DEP_4)
	v_fma_f32 v19, v6, 2.0, -v31
	v_fmamk_f32 v6, v23, 0xbec3ef15, v42
	v_fmac_f32_e32 v7, 0xbf6c835e, v23
	v_fmamk_f32 v4, v18, 0xbf3504f3, v25
	v_fmac_f32_e32 v0, 0x3f3504f3, v31
	v_fmac_f32_e32 v11, 0xbf6c835e, v20
	v_dual_fmac_f32 v6, 0x3f6c835e, v22 :: v_dual_sub_f32 v27, v5, v27
	s_delay_alu instid0(VALU_DEP_4) | instskip(SKIP_2) | instid1(VALU_DEP_4)
	v_dual_fmac_f32 v4, 0x3f3504f3, v19 :: v_dual_sub_f32 v13, v36, v13
	v_fma_f32 v20, v32, 2.0, -v2
	v_fma_f32 v21, v33, 2.0, -v3
	;; [unrolled: 1-line block ×3, first 2 shown]
	v_fmamk_f32 v1, v31, 0x3f3504f3, v27
	v_fma_f32 v22, v42, 2.0, -v6
	v_fma_f32 v23, v43, 2.0, -v7
	;; [unrolled: 1-line block ×3, first 2 shown]
	v_fmamk_f32 v5, v19, 0xbf3504f3, v41
	v_fmac_f32_e32 v1, 0xbf3504f3, v15
	v_fmamk_f32 v15, v28, 0xbf6c835e, v44
	v_fma_f32 v17, v24, 2.0, -v9
	v_fma_f32 v24, v30, 2.0, -v10
	v_fmac_f32_e32 v5, 0xbf3504f3, v18
	v_fma_f32 v18, v39, 2.0, -v0
	v_fma_f32 v19, v27, 2.0, -v1
	v_fmac_f32_e32 v15, 0xbec3ef15, v26
	ds_store_2addr_stride64_b64 v137, v[0:1], v[2:3] offset0:56 offset1:60
	v_fma_f32 v2, v25, 2.0, -v4
	v_fma_f32 v3, v41, 2.0, -v5
	;; [unrolled: 1-line block ×5, first 2 shown]
	ds_store_2addr_stride64_b64 v137, v[18:19], v[20:21] offset0:24 offset1:28
	ds_store_2addr_stride64_b64 v137, v[4:5], v[6:7] offset0:40 offset1:44
	v_fma_f32 v4, v37, 2.0, -v14
	v_fma_f32 v5, v44, 2.0, -v15
	ds_store_2addr_stride64_b64 v137, v[8:9], v[10:11] offset0:48 offset1:52
	ds_store_2addr_stride64_b64 v137, v[2:3], v[22:23] offset0:8 offset1:12
	;; [unrolled: 1-line block ×4, first 2 shown]
	ds_store_2addr_stride64_b64 v137, v[0:1], v[4:5] offset1:4
	s_waitcnt lgkmcnt(0)
	s_barrier
	buffer_gl0_inv
	ds_load_2addr_stride64_b64 v[0:3], v137 offset1:4
	ds_load_2addr_stride64_b64 v[4:7], v137 offset0:8 offset1:12
	ds_load_2addr_stride64_b64 v[8:11], v137 offset0:16 offset1:20
	;; [unrolled: 1-line block ×7, first 2 shown]
	v_add_co_u32 v32, vcc_lo, v118, s0
	v_add_co_ci_u32_e32 v33, vcc_lo, s1, v119, vcc_lo
	s_delay_alu instid0(VALU_DEP_2) | instskip(NEXT) | instid1(VALU_DEP_2)
	v_add_co_u32 v34, vcc_lo, v32, s0
	v_add_co_ci_u32_e32 v35, vcc_lo, s1, v33, vcc_lo
	s_delay_alu instid0(VALU_DEP_2) | instskip(NEXT) | instid1(VALU_DEP_2)
	v_add_co_u32 v36, vcc_lo, v34, s0
	v_add_co_ci_u32_e32 v37, vcc_lo, s1, v35, vcc_lo
	s_waitcnt lgkmcnt(7)
	v_mul_f32_e32 v38, v58, v1
	v_dual_mul_f32 v39, v58, v0 :: v_dual_mul_f32 v40, v60, v3
	s_waitcnt lgkmcnt(6)
	v_mul_f32_e32 v42, v64, v5
	v_mul_f32_e32 v41, v60, v2
	;; [unrolled: 1-line block ×4, first 2 shown]
	v_fmac_f32_e32 v40, v59, v2
	s_waitcnt lgkmcnt(5)
	v_dual_mul_f32 v46, v78, v9 :: v_dual_mul_f32 v45, v76, v6
	s_delay_alu instid0(VALU_DEP_3) | instskip(SKIP_4) | instid1(VALU_DEP_3)
	v_dual_mul_f32 v47, v78, v8 :: v_dual_fmac_f32 v44, v75, v6
	v_mul_f32_e32 v48, v80, v11
	s_waitcnt lgkmcnt(4)
	v_dual_mul_f32 v50, v66, v13 :: v_dual_mul_f32 v49, v80, v10
	v_dual_mul_f32 v51, v66, v12 :: v_dual_mul_f32 v52, v68, v15
	v_fmac_f32_e32 v48, v79, v10
	s_waitcnt lgkmcnt(3)
	v_dual_mul_f32 v54, v70, v17 :: v_dual_mul_f32 v53, v68, v14
	s_delay_alu instid0(VALU_DEP_3)
	v_dual_mul_f32 v55, v70, v16 :: v_dual_fmac_f32 v52, v67, v14
	v_mul_f32_e32 v56, v62, v19
	v_mul_f32_e32 v58, v62, v18
	s_waitcnt lgkmcnt(2)
	v_mul_f32_e32 v60, v72, v21
	v_mul_f32_e32 v62, v72, v20
	v_mul_f32_e32 v64, v82, v23
	v_mul_f32_e32 v66, v82, v22
	s_waitcnt lgkmcnt(1)
	v_mul_f32_e32 v68, v74, v25
	v_mul_f32_e32 v70, v74, v24
	v_mul_f32_e32 v72, v84, v27
	v_mul_f32_e32 v74, v84, v26
	s_waitcnt lgkmcnt(0)
	v_mul_f32_e32 v76, v86, v29
	v_mul_f32_e32 v78, v86, v28
	v_mul_f32_e32 v80, v88, v31
	v_mul_f32_e32 v82, v88, v30
	v_fmac_f32_e32 v38, v57, v0
	v_fma_f32 v1, v57, v1, -v39
	v_fmac_f32_e32 v42, v63, v4
	v_fma_f32 v3, v59, v3, -v41
	v_fma_f32 v5, v63, v5, -v43
	v_fmac_f32_e32 v46, v77, v8
	v_fma_f32 v7, v75, v7, -v45
	;; [unrolled: 3-line block ×4, first 2 shown]
	v_fma_f32 v17, v69, v17, -v55
	v_dual_fmac_f32 v56, v61, v18 :: v_dual_mul_f32 v1, 0x39800000, v1
	v_fma_f32 v19, v61, v19, -v58
	v_dual_fmac_f32 v60, v71, v20 :: v_dual_mul_f32 v3, 0x39800000, v3
	;; [unrolled: 2-line block ×7, first 2 shown]
	v_fma_f32 v31, v87, v31, -v82
	v_dual_mul_f32 v0, 0x39800000, v38 :: v_dual_mul_f32 v15, 0x39800000, v15
	v_dual_mul_f32 v2, 0x39800000, v40 :: v_dual_mul_f32 v17, 0x39800000, v17
	;; [unrolled: 1-line block ×9, first 2 shown]
	v_mul_f32_e32 v18, 0x39800000, v56
	v_mul_f32_e32 v20, 0x39800000, v60
	;; [unrolled: 1-line block ×7, first 2 shown]
	s_clause 0x4
	global_store_b64 v[94:95], v[0:1], off
	global_store_b64 v[96:97], v[2:3], off
	;; [unrolled: 1-line block ×16, first 2 shown]
.LBB0_2:
	s_nop 0
	s_sendmsg sendmsg(MSG_DEALLOC_VGPRS)
	s_endpgm
	.section	.rodata,"a",@progbits
	.p2align	6, 0x0
	.amdhsa_kernel bluestein_single_back_len4096_dim1_sp_op_CI_CI
		.amdhsa_group_segment_fixed_size 32768
		.amdhsa_private_segment_fixed_size 0
		.amdhsa_kernarg_size 104
		.amdhsa_user_sgpr_count 15
		.amdhsa_user_sgpr_dispatch_ptr 0
		.amdhsa_user_sgpr_queue_ptr 0
		.amdhsa_user_sgpr_kernarg_segment_ptr 1
		.amdhsa_user_sgpr_dispatch_id 0
		.amdhsa_user_sgpr_private_segment_size 0
		.amdhsa_wavefront_size32 1
		.amdhsa_uses_dynamic_stack 0
		.amdhsa_enable_private_segment 0
		.amdhsa_system_sgpr_workgroup_id_x 1
		.amdhsa_system_sgpr_workgroup_id_y 0
		.amdhsa_system_sgpr_workgroup_id_z 0
		.amdhsa_system_sgpr_workgroup_info 0
		.amdhsa_system_vgpr_workitem_id 0
		.amdhsa_next_free_vgpr 176
		.amdhsa_next_free_sgpr 20
		.amdhsa_reserve_vcc 1
		.amdhsa_float_round_mode_32 0
		.amdhsa_float_round_mode_16_64 0
		.amdhsa_float_denorm_mode_32 3
		.amdhsa_float_denorm_mode_16_64 3
		.amdhsa_dx10_clamp 1
		.amdhsa_ieee_mode 1
		.amdhsa_fp16_overflow 0
		.amdhsa_workgroup_processor_mode 1
		.amdhsa_memory_ordered 1
		.amdhsa_forward_progress 0
		.amdhsa_shared_vgpr_count 0
		.amdhsa_exception_fp_ieee_invalid_op 0
		.amdhsa_exception_fp_denorm_src 0
		.amdhsa_exception_fp_ieee_div_zero 0
		.amdhsa_exception_fp_ieee_overflow 0
		.amdhsa_exception_fp_ieee_underflow 0
		.amdhsa_exception_fp_ieee_inexact 0
		.amdhsa_exception_int_div_zero 0
	.end_amdhsa_kernel
	.text
.Lfunc_end0:
	.size	bluestein_single_back_len4096_dim1_sp_op_CI_CI, .Lfunc_end0-bluestein_single_back_len4096_dim1_sp_op_CI_CI
                                        ; -- End function
	.section	.AMDGPU.csdata,"",@progbits
; Kernel info:
; codeLenInByte = 11720
; NumSgprs: 22
; NumVgprs: 176
; ScratchSize: 0
; MemoryBound: 0
; FloatMode: 240
; IeeeMode: 1
; LDSByteSize: 32768 bytes/workgroup (compile time only)
; SGPRBlocks: 2
; VGPRBlocks: 21
; NumSGPRsForWavesPerEU: 22
; NumVGPRsForWavesPerEU: 176
; Occupancy: 8
; WaveLimiterHint : 1
; COMPUTE_PGM_RSRC2:SCRATCH_EN: 0
; COMPUTE_PGM_RSRC2:USER_SGPR: 15
; COMPUTE_PGM_RSRC2:TRAP_HANDLER: 0
; COMPUTE_PGM_RSRC2:TGID_X_EN: 1
; COMPUTE_PGM_RSRC2:TGID_Y_EN: 0
; COMPUTE_PGM_RSRC2:TGID_Z_EN: 0
; COMPUTE_PGM_RSRC2:TIDIG_COMP_CNT: 0
	.text
	.p2alignl 7, 3214868480
	.fill 96, 4, 3214868480
	.type	__hip_cuid_5750ed008219c41d,@object ; @__hip_cuid_5750ed008219c41d
	.section	.bss,"aw",@nobits
	.globl	__hip_cuid_5750ed008219c41d
__hip_cuid_5750ed008219c41d:
	.byte	0                               ; 0x0
	.size	__hip_cuid_5750ed008219c41d, 1

	.ident	"AMD clang version 19.0.0git (https://github.com/RadeonOpenCompute/llvm-project roc-6.4.0 25133 c7fe45cf4b819c5991fe208aaa96edf142730f1d)"
	.section	".note.GNU-stack","",@progbits
	.addrsig
	.addrsig_sym __hip_cuid_5750ed008219c41d
	.amdgpu_metadata
---
amdhsa.kernels:
  - .args:
      - .actual_access:  read_only
        .address_space:  global
        .offset:         0
        .size:           8
        .value_kind:     global_buffer
      - .actual_access:  read_only
        .address_space:  global
        .offset:         8
        .size:           8
        .value_kind:     global_buffer
      - .actual_access:  read_only
        .address_space:  global
        .offset:         16
        .size:           8
        .value_kind:     global_buffer
      - .actual_access:  read_only
        .address_space:  global
        .offset:         24
        .size:           8
        .value_kind:     global_buffer
      - .actual_access:  read_only
        .address_space:  global
        .offset:         32
        .size:           8
        .value_kind:     global_buffer
      - .offset:         40
        .size:           8
        .value_kind:     by_value
      - .address_space:  global
        .offset:         48
        .size:           8
        .value_kind:     global_buffer
      - .address_space:  global
        .offset:         56
        .size:           8
        .value_kind:     global_buffer
      - .address_space:  global
        .offset:         64
        .size:           8
        .value_kind:     global_buffer
      - .address_space:  global
        .offset:         72
        .size:           8
        .value_kind:     global_buffer
      - .offset:         80
        .size:           4
        .value_kind:     by_value
      - .address_space:  global
        .offset:         88
        .size:           8
        .value_kind:     global_buffer
      - .address_space:  global
        .offset:         96
        .size:           8
        .value_kind:     global_buffer
    .group_segment_fixed_size: 32768
    .kernarg_segment_align: 8
    .kernarg_segment_size: 104
    .language:       OpenCL C
    .language_version:
      - 2
      - 0
    .max_flat_workgroup_size: 256
    .name:           bluestein_single_back_len4096_dim1_sp_op_CI_CI
    .private_segment_fixed_size: 0
    .sgpr_count:     22
    .sgpr_spill_count: 0
    .symbol:         bluestein_single_back_len4096_dim1_sp_op_CI_CI.kd
    .uniform_work_group_size: 1
    .uses_dynamic_stack: false
    .vgpr_count:     176
    .vgpr_spill_count: 0
    .wavefront_size: 32
    .workgroup_processor_mode: 1
amdhsa.target:   amdgcn-amd-amdhsa--gfx1100
amdhsa.version:
  - 1
  - 2
...

	.end_amdgpu_metadata
